;; amdgpu-corpus repo=ROCm/aiter kind=harvested arch=n/a opt=n/a

/root/src/amdgpu-assembly/repos/ROCm__aiter/hsa/gfx942/fmoe_2stages/fmoe_stage1_bf16_pertokenFp8_blockscale_g1u1_16x256_2tg_pf3.co:	file format elf64-amdgpu

Disassembly of section .text:

0000000000002a00 <_ZN5aiter59fmoe_stage1_bf16_pertokenFp8_blockscale_g1u1_16x256_2tg_pf3E>:
	s_and_b32 s1, s1, 0xffff                                   // 000000002A00: 8601FF01 0000FFFF
	s_load_dwordx2 s[8:9], s[0:1], 0x0                         // 000000002A08: C0060200 00000000
	s_load_dwordx2 s[20:21], s[0:1], 0x10                      // 000000002A10: C0060500 00000010
	s_load_dwordx2 s[24:25], s[0:1], 0x20                      // 000000002A18: C0060600 00000020
	s_load_dwordx2 s[48:49], s[0:1], 0x30                      // 000000002A20: C0060C00 00000030
	s_load_dwordx2 s[28:29], s[0:1], 0x40                      // 000000002A28: C0060700 00000040
	s_load_dwordx2 s[32:33], s[0:1], 0x50                      // 000000002A30: C0060800 00000050
	s_load_dwordx2 s[36:37], s[0:1], 0x60                      // 000000002A38: C0060900 00000060
	s_load_dwordx2 s[12:13], s[0:1], 0x70                      // 000000002A40: C0060300 00000070
	s_load_dwordx2 s[44:45], s[0:1], 0x80                      // 000000002A48: C0060B00 00000080
	s_mov_b32 s89, 0                                           // 000000002A50: BED90080
	s_load_dword s64, s[0:1], 0x90                             // 000000002A54: C0021000 00000090
	s_load_dword s65, s[0:1], 0xa0                             // 000000002A5C: C0021040 000000A0
	s_load_dword s66, s[0:1], 0xb0                             // 000000002A64: C0021080 000000B0
	s_load_dword s67, s[0:1], 0xc0                             // 000000002A6C: C00210C0 000000C0
	s_load_dword s68, s[0:1], 0xd0                             // 000000002A74: C0021100 000000D0
	s_load_dword s69, s[0:1], 0xe0                             // 000000002A7C: C0021140 000000E0
	s_load_dword s71, s[0:1], 0xf0                             // 000000002A84: C00211C0 000000F0
	s_load_dword s72, s[0:1], 0x100                            // 000000002A8C: C0021200 00000100
	s_load_dword s74, s[0:1], 0x110                            // 000000002A94: C0021280 00000110
	s_load_dword s76, s[0:1], 0x120                            // 000000002A9C: C0021300 00000120
	s_load_dword s56, s[0:1], 0x130                            // 000000002AA4: C0020E00 00000130
	s_load_dword s88, s[0:1], 0x140                            // 000000002AAC: C0021600 00000140
	s_load_dword s89, s[0:1], 0x150                            // 000000002AB4: C0021640 00000150
	v_lshrrev_b32_e32 v1, 10, v0                               // 000000002ABC: 2002008A
	v_lshrrev_b32_e32 v2, 10, v1                               // 000000002AC0: 2004028A
	v_and_b32_e32 v2, 0x3ff, v2                                // 000000002AC4: 260404FF 000003FF
	v_and_b32_e32 v1, 0x3ff, v1                                // 000000002ACC: 260202FF 000003FF
	v_and_b32_e32 v0, 0x3ff, v0                                // 000000002AD4: 260000FF 000003FF
	v_lshrrev_b32_e32 v3, 6, v0                                // 000000002ADC: 20060086
	v_and_b32_e32 v0, 63, v0                                   // 000000002AE0: 260000BF
	s_mov_b32 s2, s2                                           // 000000002AE4: BE820002
	s_mov_b32 s3, s3                                           // 000000002AE8: BE830003
	s_mov_b32 s4, s4                                           // 000000002AEC: BE840004
	v_readfirstlane_b32 s7, v3                                 // 000000002AF0: 7E0E0503
	s_waitcnt lgkmcnt(0)                                       // 000000002AF4: BF8CC07F
	s_and_b32 s49, s49, 0xffff                                 // 000000002AF8: 8631FF31 0000FFFF
	s_load_dword s48, s[48:49], 0x0                            // 000000002B00: C0020C18 00000000
	s_and_b32 s45, s45, 0xffff                                 // 000000002B08: 862DFF2D 0000FFFF
	s_and_b32 s9, s9, 0xffff                                   // 000000002B10: 8609FF09 0000FFFF
	s_mul_i32 s60, s66, s68                                    // 000000002B18: 923C4442
	s_mul_i32 s61, s66, 4                                      // 000000002B1C: 923D8442
	s_mov_b32 s22, s60                                         // 000000002B20: BE96003C
	s_mov_b32 s26, -16                                         // 000000002B24: BE9A00D0
	s_mov_b32 s30, s61                                         // 000000002B28: BE9E003D
	s_mov_b32 s14, 64                                          // 000000002B2C: BE8E00C0
	s_mov_b32 s38, -16                                         // 000000002B30: BEA600D0
	s_mov_b32 s10, -16                                         // 000000002B34: BE8A00D0
	s_lshr_b32 s60, s64, 7                                     // 000000002B38: 8F3C8740
	s_mul_i32 s61, s60, 4                                      // 000000002B3C: 923D843C
	s_lshr_b32 s60, s65, 7                                     // 000000002B40: 8F3C8741
	s_add_u32 s60, s60, 2                                      // 000000002B44: 803C823C
	s_mul_i32 s60, s60, s61                                    // 000000002B48: 923C3D3C
	s_mov_b32 s34, s60                                         // 000000002B4C: BEA2003C
	s_mov_b32 s23, 0x20000                                     // 000000002B50: BE9700FF 00020000
	s_mov_b32 s27, 0x20000                                     // 000000002B58: BE9B00FF 00020000
	s_mov_b32 s31, 0x20000                                     // 000000002B60: BE9F00FF 00020000
	s_mov_b32 s35, 0x20000                                     // 000000002B68: BEA300FF 00020000
	s_mov_b32 s15, 0x20000                                     // 000000002B70: BE8F00FF 00020000
	s_mov_b32 s39, 0x20000                                     // 000000002B78: BEA700FF 00020000
	s_mov_b32 s11, 0x20000                                     // 000000002B80: BE8B00FF 00020000
	s_and_b32 s21, s21, 0xffff                                 // 000000002B88: 8615FF15 0000FFFF
	s_and_b32 s25, s25, 0xffff                                 // 000000002B90: 8619FF19 0000FFFF
	s_and_b32 s29, s29, 0xffff                                 // 000000002B98: 861DFF1D 0000FFFF
	s_and_b32 s33, s33, 0xffff                                 // 000000002BA0: 8621FF21 0000FFFF
	s_and_b32 s13, s13, 0xffff                                 // 000000002BA8: 860DFF0D 0000FFFF
	s_and_b32 s37, s37, 0xffff                                 // 000000002BB0: 8625FF25 0000FFFF
	s_or_b32 s21, s21, 0x40000                                 // 000000002BB8: 8715FF15 00040000
	s_or_b32 s25, s25, 0x40000                                 // 000000002BC0: 8719FF19 00040000
	s_or_b32 s29, s29, 0x40000                                 // 000000002BC8: 871DFF1D 00040000
	s_or_b32 s33, s33, 0x40000                                 // 000000002BD0: 8721FF21 00040000
	s_or_b32 s13, s13, 0x40000                                 // 000000002BD8: 870DFF0D 00040000
	s_or_b32 s37, s37, 0x40000                                 // 000000002BE0: 8725FF25 00040000
	v_accvgpr_write_b32 a111, 0                                // 000000002BE8: D3D9406F 18000080
	v_mov_b32_e32 v71, 0                                       // 000000002BF0: 7E8E0280
	s_waitcnt lgkmcnt(0)                                       // 000000002BF4: BF8CC07F
	s_mul_i32 s60, s3, 16                                      // 000000002BF8: 923C9003
	s_cmp_lt_i32 s60, s48                                      // 000000002BFC: BF04303C
	s_cbranch_scc0 label_13D9                                  // 000000002C00: BF841355
	s_mov_b32 s80, 0                                           // 000000002C04: BED00080
	s_lshr_b32 s81, s64, s88                                   // 000000002C08: 8F515840
	s_mul_i32 s60, s3, 4                                       // 000000002C0C: 923C8403
	s_add_u32 s44, s60, s44                                    // 000000002C10: 802C2C3C
	s_addc_u32 s45, 0, s45                                     // 000000002C14: 822D2D80
	s_load_dword s5, s[44:45], 0x0                             // 000000002C18: C0020156 00000000
	s_mul_i32 s60, s3, 16                                      // 000000002C20: 923C9003
	s_mul_i32 s60, 4, s60                                      // 000000002C24: 923C3C84
	s_add_u32 s12, s60, s12                                    // 000000002C28: 800C0C3C
	s_addc_u32 s13, 0, s13                                     // 000000002C2C: 820D0D80
	v_and_b32_e32 v4, 15, v0                                   // 000000002C30: 2608008F
	v_lshlrev_b32_e32 v4, 2, v4                                // 000000002C34: 24080882
	buffer_load_dword v30, v4, s[12:15], 0 offen               // 000000002C38: E0501000 80031E04
	v_add_u32_e32 v4, 64, v4                                   // 000000002C40: 680808C0
	s_mul_i32 s60, 4, s7                                       // 000000002C44: 923C0784
	v_lshlrev_b32_e32 v4, 4, v0                                // 000000002C48: 24080084
	v_add_u32_e32 v4, s60, v4                                  // 000000002C4C: 6808083C
	buffer_load_dword v3, v4, s[12:15], 0 offen                // 000000002C50: E0501000 80030304
	v_mov_b32_e32 v40, 0                                       // 000000002C58: 7E500280
	v_mov_b32_e32 v56, 0                                       // 000000002C5C: 7E700280
	v_mov_b32_e32 v41, 0                                       // 000000002C60: 7E520280
	v_mov_b32_e32 v57, 0                                       // 000000002C64: 7E720280
	v_mov_b32_e32 v42, 0                                       // 000000002C68: 7E540280
	v_mov_b32_e32 v58, 0                                       // 000000002C6C: 7E740280
	v_mov_b32_e32 v43, 0                                       // 000000002C70: 7E560280
	v_mov_b32_e32 v59, 0                                       // 000000002C74: 7E760280
	v_mov_b32_e32 v44, 0                                       // 000000002C78: 7E580280
	v_mov_b32_e32 v60, 0                                       // 000000002C7C: 7E780280
	v_mov_b32_e32 v45, 0                                       // 000000002C80: 7E5A0280
	v_mov_b32_e32 v61, 0                                       // 000000002C84: 7E7A0280
	v_mov_b32_e32 v46, 0                                       // 000000002C88: 7E5C0280
	v_mov_b32_e32 v62, 0                                       // 000000002C8C: 7E7C0280
	v_mov_b32_e32 v47, 0                                       // 000000002C90: 7E5E0280
	v_mov_b32_e32 v63, 0                                       // 000000002C94: 7E7E0280
	v_mov_b32_e32 v48, 0                                       // 000000002C98: 7E600280
	v_mov_b32_e32 v64, 0                                       // 000000002C9C: 7E800280
	v_mov_b32_e32 v49, 0                                       // 000000002CA0: 7E620280
	v_mov_b32_e32 v65, 0                                       // 000000002CA4: 7E820280
	v_mov_b32_e32 v50, 0                                       // 000000002CA8: 7E640280
	v_mov_b32_e32 v66, 0                                       // 000000002CAC: 7E840280
	v_mov_b32_e32 v51, 0                                       // 000000002CB0: 7E660280
	v_mov_b32_e32 v67, 0                                       // 000000002CB4: 7E860280
	v_mov_b32_e32 v52, 0                                       // 000000002CB8: 7E680280
	v_mov_b32_e32 v68, 0                                       // 000000002CBC: 7E880280
	v_mov_b32_e32 v53, 0                                       // 000000002CC0: 7E6A0280
	v_mov_b32_e32 v69, 0                                       // 000000002CC4: 7E8A0280
	v_mov_b32_e32 v54, 0                                       // 000000002CC8: 7E6C0280
	v_mov_b32_e32 v70, 0                                       // 000000002CCC: 7E8C0280
	v_mov_b32_e32 v55, 0                                       // 000000002CD0: 7E6E0280
	v_mov_b32_e32 v71, 0                                       // 000000002CD4: 7E8E0280
	s_mul_i32 s60, s2, 0x100                                   // 000000002CD8: 923CFF02 00000100
	s_cmp_eq_u32 s88, 0                                        // 000000002CE0: BF068058
	s_cselect_b32 s61, 1, 4                                    // 000000002CE4: 853D8481
	s_mul_i32 s60, s60, s61                                    // 000000002CE8: 923C3D3C
	s_mov_b32 s90, s8                                          // 000000002CEC: BEDA0008
	s_mov_b32 s91, s9                                          // 000000002CF0: BEDB0009
	s_add_u32 s8, s60, s8                                      // 000000002CF4: 8008083C
	s_addc_u32 s9, 0, s9                                       // 000000002CF8: 82090980
	v_lshrrev_b32_e32 v4, 4, v0                                // 000000002CFC: 20080084
	v_mul_lo_u32 v20, 34, v4                                   // 000000002D00: D2850014 000208A2
	v_and_b32_e32 v4, 15, v0                                   // 000000002D08: 2608008F
	v_mul_lo_u32 v5, 2, v4                                     // 000000002D0C: D2850005 00020882
	v_add_u32_e32 v20, v5, v20                                 // 000000002D14: 68282905
	s_mul_i32 s60, s7, 0x88                                    // 000000002D18: 923CFF07 00000088
	v_add_u32_e32 v20, s60, v20                                // 000000002D20: 6828283C
	v_lshlrev_b32_e32 v20, 2, v20                              // 000000002D24: 24282882
	v_and_b32_e32 v4, 31, v0                                   // 000000002D28: 2608009F
	v_lshrrev_b32_e32 v4, 1, v4                                // 000000002D2C: 20080881
	v_mul_lo_u32 v21, 34, v4                                   // 000000002D30: D2850015 000208A2
	v_lshrrev_b32_e32 v4, 5, v0                                // 000000002D38: 20080085
	v_mul_lo_u32 v4, 8, v4                                     // 000000002D3C: D2850004 00020888
	v_add_u32_e32 v21, v21, v4                                 // 000000002D44: 682A0915
	v_and_b32_e32 v5, 1, v0                                    // 000000002D48: 260A0081
	v_add_u32_e32 v21, v5, v21                                 // 000000002D4C: 682A2B05
	s_mul_i32 s60, s7, 2                                       // 000000002D50: 923C8207
	v_add_u32_e32 v21, s60, v21                                // 000000002D54: 682A2A3C
	v_lshlrev_b32_e32 v21, 2, v21                              // 000000002D58: 242A2A82
	s_mul_i32 s60, s7, 0x220                                   // 000000002D5C: 923CFF07 00000220
	s_add_u32 s48, 0, s60                                      // 000000002D64: 80303C80
	s_add_u32 s49, 0x880, s48                                  // 000000002D68: 803130FF 00000880
	s_add_u32 s50, 0x880, s49                                  // 000000002D70: 803231FF 00000880
	v_lshrrev_b32_e32 v4, 4, v0                                // 000000002D78: 20080084
	v_lshlrev_b32_e32 v5, 2, v4                                // 000000002D7C: 240A0882
	v_and_b32_e32 v4, 15, v0                                   // 000000002D80: 2608008F
	v_lshrrev_b32_e32 v6, 2, v4                                // 000000002D84: 200C0882
	v_lshlrev_b32_e32 v6, 5, v6                                // 000000002D88: 240C0C85
	v_add_u32_e32 v5, v6, v5                                   // 000000002D8C: 680A0B06
	v_and_b32_e32 v4, 3, v0                                    // 000000002D90: 26080083
	v_mul_u32_u24_e32 v6, 0x88, v4                             // 000000002D94: 100C08FF 00000088
	v_add_u32_e32 v5, v6, v5                                   // 000000002D9C: 680A0B06
	v_lshlrev_b32_e32 v2, 2, v5                                // 000000002DA0: 24040A82
	s_waitcnt lgkmcnt(0)                                       // 000000002DA4: BF8CC07F
	s_mul_i32 s60, s2, 0x100                                   // 000000002DA8: 923CFF02 00000100
	s_mul_i32 s60, s60, s69                                    // 000000002DB0: 923C453C
	s_mul_i32 s61, s5, s72                                     // 000000002DB4: 923D4805
	s_add_u32 s60, s61, s60                                    // 000000002DB8: 803C3C3D
	s_add_u32 s24, s60, s24                                    // 000000002DBC: 8018183C
	s_addc_u32 s25, 0, s25                                     // 000000002DC0: 82191980
	s_lshr_b32 s60, s64, s88                                   // 000000002DC4: 8F3C5840
	s_mul_i32 s60, s4, s60                                     // 000000002DC8: 923C3C04
	s_lshr_b32 s60, s60, 7                                     // 000000002DCC: 8F3C873C
	s_mul_i32 s60, s60, 0x800                                  // 000000002DD0: 923CFF3C 00000800
	s_add_u32 s24, s60, s24                                    // 000000002DD8: 8018183C
	s_addc_u32 s25, 0, s25                                     // 000000002DDC: 82191980
	s_lshr_b32 s60, s69, s88                                   // 000000002DE0: 8F3C5845
	s_mul_i32 s60, s4, s60                                     // 000000002DE4: 923C3C04
	s_add_u32 s20, s60, s20                                    // 000000002DE8: 8014143C
	s_addc_u32 s21, 0, s21                                     // 000000002DEC: 82151580
	s_mul_i32 s60, s7, 16                                      // 000000002DF0: 923C9007
	s_mul_i32 s60, s60, s69                                    // 000000002DF4: 923C453C
	v_lshlrev_b32_e32 v36, 4, v0                               // 000000002DF8: 24480084
	v_add_u32_e32 v36, s60, v36                                // 000000002DFC: 6848483C
	s_mul_i32 s60, 64, s69                                     // 000000002E00: 923C45C0
	v_add_u32_e32 v37, s60, v36                                // 000000002E04: 684A483C
	v_add_u32_e32 v38, s60, v37                                // 000000002E08: 684C4A3C
	v_add_u32_e32 v39, s60, v38                                // 000000002E0C: 684E4C3C
	s_mov_b32 s84, s24                                         // 000000002E10: BED40018
	s_mov_b32 s85, s25                                         // 000000002E14: BED50019
	s_mov_b32 s86, s26                                         // 000000002E18: BED6001A
	s_mov_b32 s87, s27                                         // 000000002E1C: BED7001B
	s_mul_i32 s60, s69, s65                                    // 000000002E20: 923C4145
	s_add_u32 s84, s60, s84                                    // 000000002E24: 8054543C
	s_addc_u32 s85, 0, s85                                     // 000000002E28: 82555580
	s_lshr_b32 s60, s64, 7                                     // 000000002E2C: 8F3C8740
	s_mul_i32 s61, s60, 4                                      // 000000002E30: 923D843C
	v_and_b32_e32 v22, 15, v0                                  // 000000002E34: 262C008F
	v_mul_lo_u32 v22, v22, s61                                 // 000000002E38: D2850016 00007B16
	s_lshr_b32 s60, s65, 7                                     // 000000002E40: 8F3C8741
	s_mul_i32 s60, s60, s61                                    // 000000002E44: 923C3D3C
	v_add_u32_e64 v23, v22, s60                                // 000000002E48: D1340017 00007916
	s_mul_i32 s60, s2, 2                                       // 000000002E50: 923C8202
	s_mul_i32 s60, s60, s61                                    // 000000002E54: 923C3D3C
	s_mul_i32 s61, s5, s74                                     // 000000002E58: 923D4A05
	s_add_u32 s61, s61, s60                                    // 000000002E5C: 803D3C3D
	s_add_u32 s32, s61, s32                                    // 000000002E60: 8020203D
	s_addc_u32 s33, 0, s33                                     // 000000002E64: 82212180
	s_lshr_b32 s60, s64, 7                                     // 000000002E68: 8F3C8740
	s_lshr_b32 s60, s60, s88                                   // 000000002E6C: 8F3C583C
	s_mul_i32 s60, s4, s60                                     // 000000002E70: 923C3C04
	s_mul_i32 s61, s60, 4                                      // 000000002E74: 923D843C
	s_add_u32 s32, s61, s32                                    // 000000002E78: 8020203D
	s_addc_u32 s33, 0, s33                                     // 000000002E7C: 82212180
	s_lshl_b32 s62, s66, 2                                     // 000000002E80: 8E3E8242
	s_mul_i32 s62, s60, s62                                    // 000000002E84: 923E3E3C
	s_add_u32 s28, s62, s28                                    // 000000002E88: 801C1C3E
	s_addc_u32 s29, 0, s29                                     // 000000002E8C: 821D1D80
	s_mov_b32 s4, 4                                            // 000000002E90: BE840084
	s_mov_b32 s57, 0x80                                        // 000000002E94: BEB900FF 00000080
	s_mov_b32 s58, 0x800                                       // 000000002E9C: BEBA00FF 00000800
	s_mov_b32 s83, s58                                         // 000000002EA4: BED3003A
	s_mov_b32 s52, 0x7060302                                   // 000000002EA8: BEB400FF 07060302
	s_mov_b32 s53, 0x400                                       // 000000002EB0: BEB500FF 00000400
	s_mov_b32 s54, 0x40100                                     // 000000002EB8: BEB600FF 00040100
	s_mov_b32 s55, 0x4020100                                   // 000000002EC0: BEB700FF 04020100
	s_mov_b32 s6, 0x3fb8aa3b                                   // 000000002EC8: BE8600FF 3FB8AA3B
	s_mov_b32 s78, 0xbd92220c                                  // 000000002ED0: BECE00FF BD92220C
	s_mov_b32 s79, 0xbd92220c                                  // 000000002ED8: BECF00FF BD92220C
	s_mov_b32 m0, s48                                          // 000000002EE0: BEFC0030
	v_mov_b32_e32 v1, 0xbfcc4231                               // 000000002EE4: 7E0202FF BFCC4231
	v_mov_b32_e32 v17, 0xffff0000                              // 000000002EEC: 7E2202FF FFFF0000
	v_mov_b32_e32 v18, 0x7fff0000                              // 000000002EF4: 7E2402FF 7FFF0000
	v_mov_b32_e32 v19, 0x7fff                                  // 000000002EFC: 7E2602FF 00007FFF
	s_waitcnt vmcnt(0) expcnt(0) lgkmcnt(0)                    // 000000002F04: BF8C0000
	v_lshrrev_b32_e32 v4, 5, v0                                // 000000002F08: 20080085
	v_xor_b32_e32 v5, 1, v4                                    // 000000002F0C: 2A0A0881
	v_readlane_b32 s82, v3, 0                                  // 000000002F10: D2890052 00010103
	s_and_b32 s82, s82, 0xffffff                               // 000000002F18: 8652FF52 00FFFFFF
	v_mul_lo_u32 v6, v5, s82                                   // 000000002F20: D2850006 0000A505
	v_readlane_b32 s82, v3, 1                                  // 000000002F28: D2890052 00010303
	s_and_b32 s82, s82, 0xffffff                               // 000000002F30: 8652FF52 00FFFFFF
	v_mul_lo_u32 v7, v4, s82                                   // 000000002F38: D2850007 0000A504
	v_add_u32_e32 v34, v6, v7                                  // 000000002F40: 68440F06
	v_mul_lo_u32 v34, v34, s68                                 // 000000002F44: D2850022 00008922
	v_readlane_b32 s82, v3, 2                                  // 000000002F4C: D2890052 00010503
	s_and_b32 s82, s82, 0xffffff                               // 000000002F54: 8652FF52 00FFFFFF
	v_mul_lo_u32 v6, v5, s82                                   // 000000002F5C: D2850006 0000A505
	v_readlane_b32 s82, v3, 3                                  // 000000002F64: D2890052 00010703
	s_and_b32 s82, s82, 0xffffff                               // 000000002F6C: 8652FF52 00FFFFFF
	v_mul_lo_u32 v7, v4, s82                                   // 000000002F74: D2850007 0000A504
	v_add_u32_e32 v35, v6, v7                                  // 000000002F7C: 68460F06
	v_mul_lo_u32 v35, v35, s68                                 // 000000002F80: D2850023 00008923
	v_and_b32_e32 v4, 31, v0                                   // 000000002F88: 2608009F
	v_lshlrev_b32_e32 v4, 2, v4                                // 000000002F8C: 24080882
	v_add_u32_e32 v34, v34, v4                                 // 000000002F90: 68440922
	v_add_u32_e32 v35, v35, v4                                 // 000000002F94: 68460923
	v_and_b32_e32 v30, 0xffffff, v30                           // 000000002F98: 263C3CFF 00FFFFFF
	v_lshlrev_b32_e32 v30, 2, v30                              // 000000002FA0: 243C3C82
	s_lshl_b32 s3, s66, 2                                      // 000000002FA4: 8E038242
	buffer_load_dword v34, s[20:23], 0 offen lds               // 000000002FA8: E0511000 80050022
	s_add_u32 m0, 0x100, s48                                   // 000000002FB0: 807C30FF 00000100
	buffer_load_dword v35, s[20:23], 0 offen lds               // 000000002FB8: E0511000 80050023
	s_add_u32 m0, 0, s49                                       // 000000002FC0: 807C3180
	s_add_u32 s20, s57, s20                                    // 000000002FC4: 80141439
	s_addc_u32 s21, 0, s21                                     // 000000002FC8: 82151580
	buffer_load_dword v31, v30, s[28:31], 0 offen              // 000000002FCC: E0501000 80071F1E
	s_add_u32 s28, s3, s28                                     // 000000002FD4: 801C1C03
	s_addc_u32 s29, 0, s29                                     // 000000002FD8: 821D1D80
	buffer_load_dwordx4 a[16:19], v36, s[24:27], 0 offen       // 000000002FDC: E05C1000 80861024
	buffer_load_dwordx4 a[20:23], v36, s[24:27], 0 offen offset:1024// 000000002FE4: E05C1400 80861424
	buffer_load_dwordx4 a[24:27], v37, s[24:27], 0 offen       // 000000002FEC: E05C1000 80861825
	buffer_load_dwordx4 a[28:31], v37, s[24:27], 0 offen offset:1024// 000000002FF4: E05C1400 80861C25
	buffer_load_dwordx4 a[32:35], v38, s[24:27], 0 offen       // 000000002FFC: E05C1000 80862026
	buffer_load_dwordx4 a[36:39], v38, s[24:27], 0 offen offset:1024// 000000003004: E05C1400 80862426
	buffer_load_dwordx4 a[40:43], v39, s[24:27], 0 offen       // 00000000300C: E05C1000 80862827
	buffer_load_dwordx4 a[44:47], v39, s[24:27], 0 offen offset:1024// 000000003014: E05C1400 80862C27
	s_add_u32 s24, s58, s24                                    // 00000000301C: 8018183A
	s_addc_u32 s25, 0, s25                                     // 000000003020: 82191980
	buffer_load_dword v24, v22, s[32:35], 0 offen              // 000000003024: E0501000 80081816
	buffer_load_dword v34, s[20:23], 0 offen lds               // 00000000302C: E0511000 80050022
	s_add_u32 m0, 0x100, s49                                   // 000000003034: 807C31FF 00000100
	buffer_load_dword v35, s[20:23], 0 offen lds               // 00000000303C: E0511000 80050023
	s_add_u32 m0, 0, s50                                       // 000000003044: 807C3280
	s_add_u32 s20, s57, s20                                    // 000000003048: 80141439
	s_addc_u32 s21, 0, s21                                     // 00000000304C: 82151580
	buffer_load_dword v32, v30, s[28:31], 0 offen              // 000000003050: E0501000 8007201E
	s_add_u32 s28, s3, s28                                     // 000000003058: 801C1C03
	s_addc_u32 s29, 0, s29                                     // 00000000305C: 821D1D80
	buffer_load_dwordx4 a[48:51], v36, s[84:87], 0 offen       // 000000003060: E05C1000 80953024
	buffer_load_dwordx4 a[52:55], v36, s[84:87], 0 offen offset:1024// 000000003068: E05C1400 80953424
	buffer_load_dwordx4 a[56:59], v37, s[84:87], 0 offen       // 000000003070: E05C1000 80953825
	buffer_load_dwordx4 a[60:63], v37, s[84:87], 0 offen offset:1024// 000000003078: E05C1400 80953C25
	buffer_load_dwordx4 a[64:67], v38, s[84:87], 0 offen       // 000000003080: E05C1000 80954026
	buffer_load_dwordx4 a[68:71], v38, s[84:87], 0 offen offset:1024// 000000003088: E05C1400 80954426
	buffer_load_dwordx4 a[72:75], v39, s[84:87], 0 offen       // 000000003090: E05C1000 80954827
	buffer_load_dwordx4 a[76:79], v39, s[84:87], 0 offen offset:1024// 000000003098: E05C1400 80954C27
	s_add_u32 s84, s83, s84                                    // 0000000030A0: 80545453
	s_addc_u32 s85, 0, s85                                     // 0000000030A4: 82555580
	buffer_load_dword v27, v23, s[32:35], 0 offen              // 0000000030A8: E0501000 80081B17
	s_add_u32 s32, s4, s32                                     // 0000000030B0: 80202004
	s_addc_u32 s33, 0, s33                                     // 0000000030B4: 82212180
	s_waitcnt vmcnt(22)                                        // 0000000030B8: BF8C4F76
	s_barrier                                                  // 0000000030BC: BF8A0000
	ds_read_b128 a[0:3], v2                                    // 0000000030C0: DBFE0000 00000002
	ds_read_b128 a[4:7], v2 offset:64                          // 0000000030C8: DBFE0040 04000002
	s_cmp_lt_i32 s7, 2                                         // 0000000030D0: BF048207
	s_cbranch_scc0 label_0AC9                                  // 0000000030D4: BF840910

00000000000030d8 <label_01B6>:
	s_waitcnt vmcnt(12) lgkmcnt(0)                             // 0000000030D8: BF8C007C
	v_mul_f32_dpp v4, v24, v31 row_newbcast:0 row_mask:0xf bank_mask:0xf// 0000000030DC: 0A083EFA FF015018
	v_mfma_f32_16x16x32_fp8_fp8 v[8:11], a[16:17], a[0:1], 0   // 0000000030E4: D3F30008 1A020110
	buffer_load_dword v25, v22, s[32:35], 0 offen              // 0000000030EC: E0501000 80081916
	v_mfma_f32_16x16x32_fp8_fp8 v[8:11], a[18:19], a[2:3], v[8:11]// 0000000030F4: D3F30008 1C220512
	buffer_load_dwordx4 a[80:83], v36, s[24:27], 0 offen       // 0000000030FC: E05C1000 80865024
	v_mfma_f32_16x16x32_fp8_fp8 v[8:11], a[20:21], a[4:5], v[8:11]// 000000003104: D3F30008 1C220914
	v_mfma_f32_16x16x32_fp8_fp8 v[8:11], a[22:23], a[6:7], v[8:11]// 00000000310C: D3F30008 1C220D16
	v_mfma_f32_16x16x32_fp8_fp8 v[12:15], a[24:25], a[0:1], 0  // 000000003114: D3F3000C 1A020118
	v_mfma_f32_16x16x32_fp8_fp8 v[12:15], a[26:27], a[2:3], v[12:15]// 00000000311C: D3F3000C 1C32051A
	buffer_load_dwordx4 a[84:87], v36, s[24:27], 0 offen offset:1024// 000000003124: E05C1400 80865424
	v_mfma_f32_16x16x32_fp8_fp8 v[12:15], a[28:29], a[4:5], v[12:15]// 00000000312C: D3F3000C 1C32091C
	v_mfma_f32_16x16x32_fp8_fp8 v[12:15], a[30:31], a[6:7], v[12:15]// 000000003134: D3F3000C 1C320D1E
	v_fma_f32 v40, v8, v4, v40                                 // 00000000313C: D1CB0028 04A20908
	v_fma_f32 v41, v9, v4, v41                                 // 000000003144: D1CB0029 04A60909
	v_fma_f32 v42, v10, v4, v42                                // 00000000314C: D1CB002A 04AA090A
	v_fma_f32 v43, v11, v4, v43                                // 000000003154: D1CB002B 04AE090B
	v_mul_f32_dpp v6, v24, v31 row_newbcast:1 row_mask:0xf bank_mask:0xf// 00000000315C: 0A0C3EFA FF015118
	v_mfma_f32_16x16x32_fp8_fp8 v[8:11], a[32:33], a[0:1], 0   // 000000003164: D3F30008 1A020120
	v_mfma_f32_16x16x32_fp8_fp8 v[8:11], a[34:35], a[2:3], v[8:11]// 00000000316C: D3F30008 1C220522
	buffer_load_dwordx4 a[88:91], v37, s[24:27], 0 offen       // 000000003174: E05C1000 80865825
	v_mfma_f32_16x16x32_fp8_fp8 v[8:11], a[36:37], a[4:5], v[8:11]// 00000000317C: D3F30008 1C220924
	v_mfma_f32_16x16x32_fp8_fp8 v[8:11], a[38:39], a[6:7], v[8:11]// 000000003184: D3F30008 1C220D26
	v_fma_f32 v44, v12, v4, v44                                // 00000000318C: D1CB002C 04B2090C
	v_fma_f32 v45, v13, v4, v45                                // 000000003194: D1CB002D 04B6090D
	v_fma_f32 v46, v14, v4, v46                                // 00000000319C: D1CB002E 04BA090E
	v_fma_f32 v47, v15, v4, v47                                // 0000000031A4: D1CB002F 04BE090F
	v_mfma_f32_16x16x32_fp8_fp8 v[12:15], a[40:41], a[0:1], 0  // 0000000031AC: D3F3000C 1A020128
	v_mfma_f32_16x16x32_fp8_fp8 v[12:15], a[42:43], a[2:3], v[12:15]// 0000000031B4: D3F3000C 1C32052A
	buffer_load_dwordx4 a[92:95], v37, s[24:27], 0 offen offset:1024// 0000000031BC: E05C1400 80865C25
	v_mfma_f32_16x16x32_fp8_fp8 v[12:15], a[44:45], a[4:5], v[12:15]// 0000000031C4: D3F3000C 1C32092C
	v_mfma_f32_16x16x32_fp8_fp8 v[12:15], a[46:47], a[6:7], v[12:15]// 0000000031CC: D3F3000C 1C320D2E
	v_fma_f32 v48, v8, v6, v48                                 // 0000000031D4: D1CB0030 04C20D08
	v_fma_f32 v49, v9, v6, v49                                 // 0000000031DC: D1CB0031 04C60D09
	v_fma_f32 v50, v10, v6, v50                                // 0000000031E4: D1CB0032 04CA0D0A
	v_fma_f32 v51, v11, v6, v51                                // 0000000031EC: D1CB0033 04CE0D0B
	v_fma_f32 v52, v12, v6, v52                                // 0000000031F4: D1CB0034 04D20D0C
	v_fma_f32 v53, v13, v6, v53                                // 0000000031FC: D1CB0035 04D60D0D
	v_fma_f32 v54, v14, v6, v54                                // 000000003204: D1CB0036 04DA0D0E
	v_fma_f32 v55, v15, v6, v55                                // 00000000320C: D1CB0037 04DE0D0F
	buffer_load_dwordx4 a[96:99], v38, s[24:27], 0 offen       // 000000003214: E05C1000 80866026
	buffer_load_dwordx4 a[100:103], v38, s[24:27], 0 offen offset:1024// 00000000321C: E05C1400 80866426
	buffer_load_dwordx4 a[104:107], v39, s[24:27], 0 offen     // 000000003224: E05C1000 80866827
	buffer_load_dwordx4 a[108:111], v39, s[24:27], 0 offen offset:1024// 00000000322C: E05C1400 80866C27
	buffer_load_dword v34, s[20:23], 0 offen lds               // 000000003234: E0511000 80050022
	s_add_u32 m0, 0x100, s50                                   // 00000000323C: 807C32FF 00000100
	buffer_load_dword v35, s[20:23], 0 offen lds               // 000000003244: E0511000 80050023
	s_add_u32 m0, 0, s48                                       // 00000000324C: 807C3080
	buffer_load_dword v33, v30, s[28:31], 0 offen              // 000000003250: E0501000 8007211E
	s_waitcnt vmcnt(12)                                        // 000000003258: BF8C0F7C
	s_barrier                                                  // 00000000325C: BF8A0000
	v_mul_f32_dpp v4, v27, v31 row_newbcast:0 row_mask:0xf bank_mask:0xf// 000000003260: 0A083EFA FF01501B
	v_mfma_f32_16x16x32_fp8_fp8 v[8:11], a[48:49], a[0:1], 0   // 000000003268: D3F30008 1A020130
	buffer_load_dword v28, v23, s[32:35], 0 offen              // 000000003270: E0501000 80081C17
	v_mfma_f32_16x16x32_fp8_fp8 v[8:11], a[50:51], a[2:3], v[8:11]// 000000003278: D3F30008 1C220532
	buffer_load_dwordx4 a[16:19], v36, s[84:87], 0 offen       // 000000003280: E05C1000 80951024
	v_mfma_f32_16x16x32_fp8_fp8 v[8:11], a[52:53], a[4:5], v[8:11]// 000000003288: D3F30008 1C220934
	v_mfma_f32_16x16x32_fp8_fp8 v[8:11], a[54:55], a[6:7], v[8:11]// 000000003290: D3F30008 1C220D36
	ds_read_b128 a[8:11], v2 offset:2176                       // 000000003298: DBFE0880 08000002
	ds_read_b128 a[12:15], v2 offset:2240                      // 0000000032A0: DBFE08C0 0C000002
	v_mfma_f32_16x16x32_fp8_fp8 v[12:15], a[56:57], a[0:1], 0  // 0000000032A8: D3F3000C 1A020138
	v_mfma_f32_16x16x32_fp8_fp8 v[12:15], a[58:59], a[2:3], v[12:15]// 0000000032B0: D3F3000C 1C32053A
	buffer_load_dwordx4 a[20:23], v36, s[84:87], 0 offen offset:1024// 0000000032B8: E05C1400 80951424
	v_mfma_f32_16x16x32_fp8_fp8 v[12:15], a[60:61], a[4:5], v[12:15]// 0000000032C0: D3F3000C 1C32093C
	v_mfma_f32_16x16x32_fp8_fp8 v[12:15], a[62:63], a[6:7], v[12:15]// 0000000032C8: D3F3000C 1C320D3E
	v_fma_f32 v56, v8, v4, v56                                 // 0000000032D0: D1CB0038 04E20908
	v_fma_f32 v57, v9, v4, v57                                 // 0000000032D8: D1CB0039 04E60909
	v_fma_f32 v58, v10, v4, v58                                // 0000000032E0: D1CB003A 04EA090A
	v_fma_f32 v59, v11, v4, v59                                // 0000000032E8: D1CB003B 04EE090B
	v_mul_f32_dpp v6, v27, v31 row_newbcast:1 row_mask:0xf bank_mask:0xf// 0000000032F0: 0A0C3EFA FF01511B
	v_mfma_f32_16x16x32_fp8_fp8 v[8:11], a[64:65], a[0:1], 0   // 0000000032F8: D3F30008 1A020140
	s_add_u32 s60, 0x180, s80                                  // 000000003300: 803C50FF 00000180
	s_cmp_lt_u32 s60, s81                                      // 000000003308: BF0A513C
	s_cselect_b32 s57, s57, 0                                  // 00000000330C: 85398039
	s_cselect_b32 s3, s3, 0                                    // 000000003310: 85038003
	v_mfma_f32_16x16x32_fp8_fp8 v[8:11], a[66:67], a[2:3], v[8:11]// 000000003314: D3F30008 1C220542
	buffer_load_dwordx4 a[24:27], v37, s[84:87], 0 offen       // 00000000331C: E05C1000 80951825
	s_add_u32 s60, 0x100, s80                                  // 000000003324: 803C50FF 00000100
	s_cmp_lt_u32 s60, s81                                      // 00000000332C: BF0A513C
	s_cselect_b32 s58, s58, 0                                  // 000000003330: 853A803A
	v_mfma_f32_16x16x32_fp8_fp8 v[8:11], a[68:69], a[4:5], v[8:11]// 000000003334: D3F30008 1C220944
	s_add_u32 s60, 0x100, s80                                  // 00000000333C: 803C50FF 00000100
	s_cmp_lt_u32 s60, s81                                      // 000000003344: BF0A513C
	s_cselect_b32 s83, s83, 0                                  // 000000003348: 85538053
	s_cselect_b32 s4, s4, 0                                    // 00000000334C: 85048004
	v_mfma_f32_16x16x32_fp8_fp8 v[8:11], a[70:71], a[6:7], v[8:11]// 000000003350: D3F30008 1C220D46
	s_add_u32 s24, s58, s24                                    // 000000003358: 8018183A
	s_addc_u32 s25, 0, s25                                     // 00000000335C: 82191980
	v_fma_f32 v60, v12, v4, v60                                // 000000003360: D1CB003C 04F2090C
	v_fma_f32 v61, v13, v4, v61                                // 000000003368: D1CB003D 04F6090D
	v_fma_f32 v62, v14, v4, v62                                // 000000003370: D1CB003E 04FA090E
	v_fma_f32 v63, v15, v4, v63                                // 000000003378: D1CB003F 04FE090F
	v_mfma_f32_16x16x32_fp8_fp8 v[12:15], a[72:73], a[0:1], 0  // 000000003380: D3F3000C 1A020148
	s_add_u32 s20, s57, s20                                    // 000000003388: 80141439
	s_addc_u32 s21, 0, s21                                     // 00000000338C: 82151580
	s_add_u32 s28, s3, s28                                     // 000000003390: 801C1C03
	s_addc_u32 s29, 0, s29                                     // 000000003394: 821D1D80
	v_mfma_f32_16x16x32_fp8_fp8 v[12:15], a[74:75], a[2:3], v[12:15]// 000000003398: D3F3000C 1C32054A
	buffer_load_dwordx4 a[28:31], v37, s[84:87], 0 offen offset:1024// 0000000033A0: E05C1400 80951C25
	v_mfma_f32_16x16x32_fp8_fp8 v[12:15], a[76:77], a[4:5], v[12:15]// 0000000033A8: D3F3000C 1C32094C
	s_add_u32 s32, s4, s32                                     // 0000000033B0: 80202004
	s_addc_u32 s33, 0, s33                                     // 0000000033B4: 82212180
	v_mfma_f32_16x16x32_fp8_fp8 v[12:15], a[78:79], a[6:7], v[12:15]// 0000000033B8: D3F3000C 1C320D4E
	v_fma_f32 v64, v8, v6, v64                                 // 0000000033C0: D1CB0040 05020D08
	v_fma_f32 v65, v9, v6, v65                                 // 0000000033C8: D1CB0041 05060D09
	v_fma_f32 v66, v10, v6, v66                                // 0000000033D0: D1CB0042 050A0D0A
	v_fma_f32 v67, v11, v6, v67                                // 0000000033D8: D1CB0043 050E0D0B
	v_fma_f32 v68, v12, v6, v68                                // 0000000033E0: D1CB0044 05120D0C
	v_fma_f32 v69, v13, v6, v69                                // 0000000033E8: D1CB0045 05160D0D
	v_fma_f32 v70, v14, v6, v70                                // 0000000033F0: D1CB0046 051A0D0E
	v_fma_f32 v71, v15, v6, v71                                // 0000000033F8: D1CB0047 051E0D0F
	buffer_load_dwordx4 a[32:35], v38, s[84:87], 0 offen       // 000000003400: E05C1000 80952026
	buffer_load_dwordx4 a[36:39], v38, s[84:87], 0 offen offset:1024// 000000003408: E05C1400 80952426
	buffer_load_dwordx4 a[40:43], v39, s[84:87], 0 offen       // 000000003410: E05C1000 80952827
	buffer_load_dwordx4 a[44:47], v39, s[84:87], 0 offen offset:1024// 000000003418: E05C1400 80952C27
	s_add_u32 s84, s83, s84                                    // 000000003420: 80545453
	s_addc_u32 s85, 0, s85                                     // 000000003424: 82555580
	s_addk_i32 s80, 0x80                                       // 000000003428: B7500080
	s_cmp_lt_i32 s80, s81                                      // 00000000342C: BF045150
	s_cbranch_scc0 label_06C1                                  // 000000003430: BF840434
	s_waitcnt vmcnt(12) lgkmcnt(0)                             // 000000003434: BF8C007C
	v_mul_f32_dpp v4, v25, v32 row_newbcast:0 row_mask:0xf bank_mask:0xf// 000000003438: 0A0840FA FF015019
	v_mfma_f32_16x16x32_fp8_fp8 v[8:11], a[80:81], a[8:9], 0   // 000000003440: D3F30008 1A021150
	buffer_load_dword v26, v22, s[32:35], 0 offen              // 000000003448: E0501000 80081A16
	v_mfma_f32_16x16x32_fp8_fp8 v[8:11], a[82:83], a[10:11], v[8:11]// 000000003450: D3F30008 1C221552
	buffer_load_dwordx4 a[48:51], v36, s[24:27], 0 offen       // 000000003458: E05C1000 80863024
	v_mfma_f32_16x16x32_fp8_fp8 v[8:11], a[84:85], a[12:13], v[8:11]// 000000003460: D3F30008 1C221954
	v_mfma_f32_16x16x32_fp8_fp8 v[8:11], a[86:87], a[14:15], v[8:11]// 000000003468: D3F30008 1C221D56
	v_mfma_f32_16x16x32_fp8_fp8 v[12:15], a[88:89], a[8:9], 0  // 000000003470: D3F3000C 1A021158
	v_mfma_f32_16x16x32_fp8_fp8 v[12:15], a[90:91], a[10:11], v[12:15]// 000000003478: D3F3000C 1C32155A
	buffer_load_dwordx4 a[52:55], v36, s[24:27], 0 offen offset:1024// 000000003480: E05C1400 80863424
	v_mfma_f32_16x16x32_fp8_fp8 v[12:15], a[92:93], a[12:13], v[12:15]// 000000003488: D3F3000C 1C32195C
	v_mfma_f32_16x16x32_fp8_fp8 v[12:15], a[94:95], a[14:15], v[12:15]// 000000003490: D3F3000C 1C321D5E
	v_fma_f32 v40, v8, v4, v40                                 // 000000003498: D1CB0028 04A20908
	v_fma_f32 v41, v9, v4, v41                                 // 0000000034A0: D1CB0029 04A60909
	v_fma_f32 v42, v10, v4, v42                                // 0000000034A8: D1CB002A 04AA090A
	v_fma_f32 v43, v11, v4, v43                                // 0000000034B0: D1CB002B 04AE090B
	v_mul_f32_dpp v6, v25, v32 row_newbcast:1 row_mask:0xf bank_mask:0xf// 0000000034B8: 0A0C40FA FF015119
	v_mfma_f32_16x16x32_fp8_fp8 v[8:11], a[96:97], a[8:9], 0   // 0000000034C0: D3F30008 1A021160
	v_mfma_f32_16x16x32_fp8_fp8 v[8:11], a[98:99], a[10:11], v[8:11]// 0000000034C8: D3F30008 1C221562
	buffer_load_dwordx4 a[56:59], v37, s[24:27], 0 offen       // 0000000034D0: E05C1000 80863825
	v_mfma_f32_16x16x32_fp8_fp8 v[8:11], a[100:101], a[12:13], v[8:11]// 0000000034D8: D3F30008 1C221964
	v_mfma_f32_16x16x32_fp8_fp8 v[8:11], a[102:103], a[14:15], v[8:11]// 0000000034E0: D3F30008 1C221D66
	v_fma_f32 v44, v12, v4, v44                                // 0000000034E8: D1CB002C 04B2090C
	v_fma_f32 v45, v13, v4, v45                                // 0000000034F0: D1CB002D 04B6090D
	v_fma_f32 v46, v14, v4, v46                                // 0000000034F8: D1CB002E 04BA090E
	v_fma_f32 v47, v15, v4, v47                                // 000000003500: D1CB002F 04BE090F
	v_mfma_f32_16x16x32_fp8_fp8 v[12:15], a[104:105], a[8:9], 0// 000000003508: D3F3000C 1A021168
	v_mfma_f32_16x16x32_fp8_fp8 v[12:15], a[106:107], a[10:11], v[12:15]// 000000003510: D3F3000C 1C32156A
	buffer_load_dwordx4 a[60:63], v37, s[24:27], 0 offen offset:1024// 000000003518: E05C1400 80863C25
	v_mfma_f32_16x16x32_fp8_fp8 v[12:15], a[108:109], a[12:13], v[12:15]// 000000003520: D3F3000C 1C32196C
	v_mfma_f32_16x16x32_fp8_fp8 v[12:15], a[110:111], a[14:15], v[12:15]// 000000003528: D3F3000C 1C321D6E
	v_fma_f32 v48, v8, v6, v48                                 // 000000003530: D1CB0030 04C20D08
	v_fma_f32 v49, v9, v6, v49                                 // 000000003538: D1CB0031 04C60D09
	v_fma_f32 v50, v10, v6, v50                                // 000000003540: D1CB0032 04CA0D0A
	v_fma_f32 v51, v11, v6, v51                                // 000000003548: D1CB0033 04CE0D0B
	v_fma_f32 v52, v12, v6, v52                                // 000000003550: D1CB0034 04D20D0C
	v_fma_f32 v53, v13, v6, v53                                // 000000003558: D1CB0035 04D60D0D
	v_fma_f32 v54, v14, v6, v54                                // 000000003560: D1CB0036 04DA0D0E
	v_fma_f32 v55, v15, v6, v55                                // 000000003568: D1CB0037 04DE0D0F
	buffer_load_dwordx4 a[64:67], v38, s[24:27], 0 offen       // 000000003570: E05C1000 80864026
	buffer_load_dwordx4 a[68:71], v38, s[24:27], 0 offen offset:1024// 000000003578: E05C1400 80864426
	buffer_load_dwordx4 a[72:75], v39, s[24:27], 0 offen       // 000000003580: E05C1000 80864827
	buffer_load_dwordx4 a[76:79], v39, s[24:27], 0 offen offset:1024// 000000003588: E05C1400 80864C27
	buffer_load_dword v34, s[20:23], 0 offen lds               // 000000003590: E0511000 80050022
	s_add_u32 m0, 0x100, s48                                   // 000000003598: 807C30FF 00000100
	buffer_load_dword v35, s[20:23], 0 offen lds               // 0000000035A0: E0511000 80050023
	s_add_u32 m0, 0, s49                                       // 0000000035A8: 807C3180
	buffer_load_dword v31, v30, s[28:31], 0 offen              // 0000000035AC: E0501000 80071F1E
	s_waitcnt vmcnt(12)                                        // 0000000035B4: BF8C0F7C
	s_barrier                                                  // 0000000035B8: BF8A0000
	v_mul_f32_dpp v4, v28, v32 row_newbcast:0 row_mask:0xf bank_mask:0xf// 0000000035BC: 0A0840FA FF01501C
	v_mfma_f32_16x16x32_fp8_fp8 v[8:11], a[16:17], a[8:9], 0   // 0000000035C4: D3F30008 1A021110
	buffer_load_dword v29, v23, s[32:35], 0 offen              // 0000000035CC: E0501000 80081D17
	v_mfma_f32_16x16x32_fp8_fp8 v[8:11], a[18:19], a[10:11], v[8:11]// 0000000035D4: D3F30008 1C221512
	buffer_load_dwordx4 a[80:83], v36, s[84:87], 0 offen       // 0000000035DC: E05C1000 80955024
	v_mfma_f32_16x16x32_fp8_fp8 v[8:11], a[20:21], a[12:13], v[8:11]// 0000000035E4: D3F30008 1C221914
	v_mfma_f32_16x16x32_fp8_fp8 v[8:11], a[22:23], a[14:15], v[8:11]// 0000000035EC: D3F30008 1C221D16
	ds_read_b128 a[0:3], v2 offset:4352                        // 0000000035F4: DBFE1100 00000002
	ds_read_b128 a[4:7], v2 offset:4416                        // 0000000035FC: DBFE1140 04000002
	v_mfma_f32_16x16x32_fp8_fp8 v[12:15], a[24:25], a[8:9], 0  // 000000003604: D3F3000C 1A021118
	v_mfma_f32_16x16x32_fp8_fp8 v[12:15], a[26:27], a[10:11], v[12:15]// 00000000360C: D3F3000C 1C32151A
	buffer_load_dwordx4 a[84:87], v36, s[84:87], 0 offen offset:1024// 000000003614: E05C1400 80955424
	v_mfma_f32_16x16x32_fp8_fp8 v[12:15], a[28:29], a[12:13], v[12:15]// 00000000361C: D3F3000C 1C32191C
	v_mfma_f32_16x16x32_fp8_fp8 v[12:15], a[30:31], a[14:15], v[12:15]// 000000003624: D3F3000C 1C321D1E
	v_fma_f32 v56, v8, v4, v56                                 // 00000000362C: D1CB0038 04E20908
	v_fma_f32 v57, v9, v4, v57                                 // 000000003634: D1CB0039 04E60909
	v_fma_f32 v58, v10, v4, v58                                // 00000000363C: D1CB003A 04EA090A
	v_fma_f32 v59, v11, v4, v59                                // 000000003644: D1CB003B 04EE090B
	v_mul_f32_dpp v6, v28, v32 row_newbcast:1 row_mask:0xf bank_mask:0xf// 00000000364C: 0A0C40FA FF01511C
	v_mfma_f32_16x16x32_fp8_fp8 v[8:11], a[32:33], a[8:9], 0   // 000000003654: D3F30008 1A021120
	s_add_u32 s60, 0x180, s80                                  // 00000000365C: 803C50FF 00000180
	s_cmp_lt_u32 s60, s81                                      // 000000003664: BF0A513C
	s_cselect_b32 s57, s57, 0                                  // 000000003668: 85398039
	s_cselect_b32 s3, s3, 0                                    // 00000000366C: 85038003
	v_mfma_f32_16x16x32_fp8_fp8 v[8:11], a[34:35], a[10:11], v[8:11]// 000000003670: D3F30008 1C221522
	buffer_load_dwordx4 a[88:91], v37, s[84:87], 0 offen       // 000000003678: E05C1000 80955825
	s_add_u32 s60, 0x100, s80                                  // 000000003680: 803C50FF 00000100
	s_cmp_lt_u32 s60, s81                                      // 000000003688: BF0A513C
	s_cselect_b32 s58, s58, 0                                  // 00000000368C: 853A803A
	v_mfma_f32_16x16x32_fp8_fp8 v[8:11], a[36:37], a[12:13], v[8:11]// 000000003690: D3F30008 1C221924
	s_add_u32 s60, 0x100, s80                                  // 000000003698: 803C50FF 00000100
	s_cmp_lt_u32 s60, s81                                      // 0000000036A0: BF0A513C
	s_cselect_b32 s83, s83, 0                                  // 0000000036A4: 85538053
	s_cselect_b32 s4, s4, 0                                    // 0000000036A8: 85048004
	v_mfma_f32_16x16x32_fp8_fp8 v[8:11], a[38:39], a[14:15], v[8:11]// 0000000036AC: D3F30008 1C221D26
	s_add_u32 s24, s58, s24                                    // 0000000036B4: 8018183A
	s_addc_u32 s25, 0, s25                                     // 0000000036B8: 82191980
	v_fma_f32 v60, v12, v4, v60                                // 0000000036BC: D1CB003C 04F2090C
	v_fma_f32 v61, v13, v4, v61                                // 0000000036C4: D1CB003D 04F6090D
	v_fma_f32 v62, v14, v4, v62                                // 0000000036CC: D1CB003E 04FA090E
	v_fma_f32 v63, v15, v4, v63                                // 0000000036D4: D1CB003F 04FE090F
	v_mfma_f32_16x16x32_fp8_fp8 v[12:15], a[40:41], a[8:9], 0  // 0000000036DC: D3F3000C 1A021128
	s_add_u32 s20, s57, s20                                    // 0000000036E4: 80141439
	s_addc_u32 s21, 0, s21                                     // 0000000036E8: 82151580
	s_add_u32 s28, s3, s28                                     // 0000000036EC: 801C1C03
	s_addc_u32 s29, 0, s29                                     // 0000000036F0: 821D1D80
	v_mfma_f32_16x16x32_fp8_fp8 v[12:15], a[42:43], a[10:11], v[12:15]// 0000000036F4: D3F3000C 1C32152A
	buffer_load_dwordx4 a[92:95], v37, s[84:87], 0 offen offset:1024// 0000000036FC: E05C1400 80955C25
	v_mfma_f32_16x16x32_fp8_fp8 v[12:15], a[44:45], a[12:13], v[12:15]// 000000003704: D3F3000C 1C32192C
	s_add_u32 s32, s4, s32                                     // 00000000370C: 80202004
	s_addc_u32 s33, 0, s33                                     // 000000003710: 82212180
	v_mfma_f32_16x16x32_fp8_fp8 v[12:15], a[46:47], a[14:15], v[12:15]// 000000003714: D3F3000C 1C321D2E
	v_fma_f32 v64, v8, v6, v64                                 // 00000000371C: D1CB0040 05020D08
	v_fma_f32 v65, v9, v6, v65                                 // 000000003724: D1CB0041 05060D09
	v_fma_f32 v66, v10, v6, v66                                // 00000000372C: D1CB0042 050A0D0A
	v_fma_f32 v67, v11, v6, v67                                // 000000003734: D1CB0043 050E0D0B
	v_fma_f32 v68, v12, v6, v68                                // 00000000373C: D1CB0044 05120D0C
	v_fma_f32 v69, v13, v6, v69                                // 000000003744: D1CB0045 05160D0D
	v_fma_f32 v70, v14, v6, v70                                // 00000000374C: D1CB0046 051A0D0E
	v_fma_f32 v71, v15, v6, v71                                // 000000003754: D1CB0047 051E0D0F
	buffer_load_dwordx4 a[96:99], v38, s[84:87], 0 offen       // 00000000375C: E05C1000 80956026
	buffer_load_dwordx4 a[100:103], v38, s[84:87], 0 offen offset:1024// 000000003764: E05C1400 80956426
	buffer_load_dwordx4 a[104:107], v39, s[84:87], 0 offen     // 00000000376C: E05C1000 80956827
	buffer_load_dwordx4 a[108:111], v39, s[84:87], 0 offen offset:1024// 000000003774: E05C1400 80956C27
	s_add_u32 s84, s83, s84                                    // 00000000377C: 80545453
	s_addc_u32 s85, 0, s85                                     // 000000003780: 82555580
	s_addk_i32 s80, 0x80                                       // 000000003784: B7500080
	s_cmp_lt_i32 s80, s81                                      // 000000003788: BF045150
	s_cbranch_scc0 label_06C1                                  // 00000000378C: BF84035D
	s_waitcnt vmcnt(12) lgkmcnt(0)                             // 000000003790: BF8C007C
	v_mul_f32_dpp v4, v26, v33 row_newbcast:0 row_mask:0xf bank_mask:0xf// 000000003794: 0A0842FA FF01501A
	v_mfma_f32_16x16x32_fp8_fp8 v[8:11], a[48:49], a[0:1], 0   // 00000000379C: D3F30008 1A020130
	buffer_load_dword v24, v22, s[32:35], 0 offen              // 0000000037A4: E0501000 80081816
	v_mfma_f32_16x16x32_fp8_fp8 v[8:11], a[50:51], a[2:3], v[8:11]// 0000000037AC: D3F30008 1C220532
	buffer_load_dwordx4 a[16:19], v36, s[24:27], 0 offen       // 0000000037B4: E05C1000 80861024
	v_mfma_f32_16x16x32_fp8_fp8 v[8:11], a[52:53], a[4:5], v[8:11]// 0000000037BC: D3F30008 1C220934
	v_mfma_f32_16x16x32_fp8_fp8 v[8:11], a[54:55], a[6:7], v[8:11]// 0000000037C4: D3F30008 1C220D36
	v_mfma_f32_16x16x32_fp8_fp8 v[12:15], a[56:57], a[0:1], 0  // 0000000037CC: D3F3000C 1A020138
	v_mfma_f32_16x16x32_fp8_fp8 v[12:15], a[58:59], a[2:3], v[12:15]// 0000000037D4: D3F3000C 1C32053A
	buffer_load_dwordx4 a[20:23], v36, s[24:27], 0 offen offset:1024// 0000000037DC: E05C1400 80861424
	v_mfma_f32_16x16x32_fp8_fp8 v[12:15], a[60:61], a[4:5], v[12:15]// 0000000037E4: D3F3000C 1C32093C
	v_mfma_f32_16x16x32_fp8_fp8 v[12:15], a[62:63], a[6:7], v[12:15]// 0000000037EC: D3F3000C 1C320D3E
	v_fma_f32 v40, v8, v4, v40                                 // 0000000037F4: D1CB0028 04A20908
	v_fma_f32 v41, v9, v4, v41                                 // 0000000037FC: D1CB0029 04A60909
	v_fma_f32 v42, v10, v4, v42                                // 000000003804: D1CB002A 04AA090A
	v_fma_f32 v43, v11, v4, v43                                // 00000000380C: D1CB002B 04AE090B
	v_mul_f32_dpp v6, v26, v33 row_newbcast:1 row_mask:0xf bank_mask:0xf// 000000003814: 0A0C42FA FF01511A
	v_mfma_f32_16x16x32_fp8_fp8 v[8:11], a[64:65], a[0:1], 0   // 00000000381C: D3F30008 1A020140
	v_mfma_f32_16x16x32_fp8_fp8 v[8:11], a[66:67], a[2:3], v[8:11]// 000000003824: D3F30008 1C220542
	buffer_load_dwordx4 a[24:27], v37, s[24:27], 0 offen       // 00000000382C: E05C1000 80861825
	v_mfma_f32_16x16x32_fp8_fp8 v[8:11], a[68:69], a[4:5], v[8:11]// 000000003834: D3F30008 1C220944
	v_mfma_f32_16x16x32_fp8_fp8 v[8:11], a[70:71], a[6:7], v[8:11]// 00000000383C: D3F30008 1C220D46
	v_fma_f32 v44, v12, v4, v44                                // 000000003844: D1CB002C 04B2090C
	v_fma_f32 v45, v13, v4, v45                                // 00000000384C: D1CB002D 04B6090D
	v_fma_f32 v46, v14, v4, v46                                // 000000003854: D1CB002E 04BA090E
	v_fma_f32 v47, v15, v4, v47                                // 00000000385C: D1CB002F 04BE090F
	v_mfma_f32_16x16x32_fp8_fp8 v[12:15], a[72:73], a[0:1], 0  // 000000003864: D3F3000C 1A020148
	v_mfma_f32_16x16x32_fp8_fp8 v[12:15], a[74:75], a[2:3], v[12:15]// 00000000386C: D3F3000C 1C32054A
	buffer_load_dwordx4 a[28:31], v37, s[24:27], 0 offen offset:1024// 000000003874: E05C1400 80861C25
	v_mfma_f32_16x16x32_fp8_fp8 v[12:15], a[76:77], a[4:5], v[12:15]// 00000000387C: D3F3000C 1C32094C
	v_mfma_f32_16x16x32_fp8_fp8 v[12:15], a[78:79], a[6:7], v[12:15]// 000000003884: D3F3000C 1C320D4E
	v_fma_f32 v48, v8, v6, v48                                 // 00000000388C: D1CB0030 04C20D08
	v_fma_f32 v49, v9, v6, v49                                 // 000000003894: D1CB0031 04C60D09
	v_fma_f32 v50, v10, v6, v50                                // 00000000389C: D1CB0032 04CA0D0A
	v_fma_f32 v51, v11, v6, v51                                // 0000000038A4: D1CB0033 04CE0D0B
	v_fma_f32 v52, v12, v6, v52                                // 0000000038AC: D1CB0034 04D20D0C
	v_fma_f32 v53, v13, v6, v53                                // 0000000038B4: D1CB0035 04D60D0D
	v_fma_f32 v54, v14, v6, v54                                // 0000000038BC: D1CB0036 04DA0D0E
	v_fma_f32 v55, v15, v6, v55                                // 0000000038C4: D1CB0037 04DE0D0F
	buffer_load_dwordx4 a[32:35], v38, s[24:27], 0 offen       // 0000000038CC: E05C1000 80862026
	buffer_load_dwordx4 a[36:39], v38, s[24:27], 0 offen offset:1024// 0000000038D4: E05C1400 80862426
	buffer_load_dwordx4 a[40:43], v39, s[24:27], 0 offen       // 0000000038DC: E05C1000 80862827
	buffer_load_dwordx4 a[44:47], v39, s[24:27], 0 offen offset:1024// 0000000038E4: E05C1400 80862C27
	buffer_load_dword v34, s[20:23], 0 offen lds               // 0000000038EC: E0511000 80050022
	s_add_u32 m0, 0x100, s49                                   // 0000000038F4: 807C31FF 00000100
	buffer_load_dword v35, s[20:23], 0 offen lds               // 0000000038FC: E0511000 80050023
	s_add_u32 m0, 0, s50                                       // 000000003904: 807C3280
	buffer_load_dword v32, v30, s[28:31], 0 offen              // 000000003908: E0501000 8007201E
	s_waitcnt vmcnt(12)                                        // 000000003910: BF8C0F7C
	s_barrier                                                  // 000000003914: BF8A0000
	v_mul_f32_dpp v4, v29, v33 row_newbcast:0 row_mask:0xf bank_mask:0xf// 000000003918: 0A0842FA FF01501D
	v_mfma_f32_16x16x32_fp8_fp8 v[8:11], a[80:81], a[0:1], 0   // 000000003920: D3F30008 1A020150
	buffer_load_dword v27, v23, s[32:35], 0 offen              // 000000003928: E0501000 80081B17
	v_mfma_f32_16x16x32_fp8_fp8 v[8:11], a[82:83], a[2:3], v[8:11]// 000000003930: D3F30008 1C220552
	buffer_load_dwordx4 a[48:51], v36, s[84:87], 0 offen       // 000000003938: E05C1000 80953024
	v_mfma_f32_16x16x32_fp8_fp8 v[8:11], a[84:85], a[4:5], v[8:11]// 000000003940: D3F30008 1C220954
	v_mfma_f32_16x16x32_fp8_fp8 v[8:11], a[86:87], a[6:7], v[8:11]// 000000003948: D3F30008 1C220D56
	ds_read_b128 a[8:11], v2                                   // 000000003950: DBFE0000 08000002
	ds_read_b128 a[12:15], v2 offset:64                        // 000000003958: DBFE0040 0C000002
	v_mfma_f32_16x16x32_fp8_fp8 v[12:15], a[88:89], a[0:1], 0  // 000000003960: D3F3000C 1A020158
	v_mfma_f32_16x16x32_fp8_fp8 v[12:15], a[90:91], a[2:3], v[12:15]// 000000003968: D3F3000C 1C32055A
	buffer_load_dwordx4 a[52:55], v36, s[84:87], 0 offen offset:1024// 000000003970: E05C1400 80953424
	v_mfma_f32_16x16x32_fp8_fp8 v[12:15], a[92:93], a[4:5], v[12:15]// 000000003978: D3F3000C 1C32095C
	v_mfma_f32_16x16x32_fp8_fp8 v[12:15], a[94:95], a[6:7], v[12:15]// 000000003980: D3F3000C 1C320D5E
	v_fma_f32 v56, v8, v4, v56                                 // 000000003988: D1CB0038 04E20908
	v_fma_f32 v57, v9, v4, v57                                 // 000000003990: D1CB0039 04E60909
	v_fma_f32 v58, v10, v4, v58                                // 000000003998: D1CB003A 04EA090A
	v_fma_f32 v59, v11, v4, v59                                // 0000000039A0: D1CB003B 04EE090B
	v_mul_f32_dpp v6, v29, v33 row_newbcast:1 row_mask:0xf bank_mask:0xf// 0000000039A8: 0A0C42FA FF01511D
	v_mfma_f32_16x16x32_fp8_fp8 v[8:11], a[96:97], a[0:1], 0   // 0000000039B0: D3F30008 1A020160
	s_add_u32 s60, 0x180, s80                                  // 0000000039B8: 803C50FF 00000180
	s_cmp_lt_u32 s60, s81                                      // 0000000039C0: BF0A513C
	s_cselect_b32 s57, s57, 0                                  // 0000000039C4: 85398039
	s_cselect_b32 s3, s3, 0                                    // 0000000039C8: 85038003
	v_mfma_f32_16x16x32_fp8_fp8 v[8:11], a[98:99], a[2:3], v[8:11]// 0000000039CC: D3F30008 1C220562
	buffer_load_dwordx4 a[56:59], v37, s[84:87], 0 offen       // 0000000039D4: E05C1000 80953825
	s_add_u32 s60, 0x100, s80                                  // 0000000039DC: 803C50FF 00000100
	s_cmp_lt_u32 s60, s81                                      // 0000000039E4: BF0A513C
	s_cselect_b32 s58, s58, 0                                  // 0000000039E8: 853A803A
	v_mfma_f32_16x16x32_fp8_fp8 v[8:11], a[100:101], a[4:5], v[8:11]// 0000000039EC: D3F30008 1C220964
	s_add_u32 s60, 0x100, s80                                  // 0000000039F4: 803C50FF 00000100
	s_cmp_lt_u32 s60, s81                                      // 0000000039FC: BF0A513C
	s_cselect_b32 s83, s83, 0                                  // 000000003A00: 85538053
	s_cselect_b32 s4, s4, 0                                    // 000000003A04: 85048004
	v_mfma_f32_16x16x32_fp8_fp8 v[8:11], a[102:103], a[6:7], v[8:11]// 000000003A08: D3F30008 1C220D66
	s_add_u32 s24, s58, s24                                    // 000000003A10: 8018183A
	s_addc_u32 s25, 0, s25                                     // 000000003A14: 82191980
	v_fma_f32 v60, v12, v4, v60                                // 000000003A18: D1CB003C 04F2090C
	v_fma_f32 v61, v13, v4, v61                                // 000000003A20: D1CB003D 04F6090D
	v_fma_f32 v62, v14, v4, v62                                // 000000003A28: D1CB003E 04FA090E
	v_fma_f32 v63, v15, v4, v63                                // 000000003A30: D1CB003F 04FE090F
	v_mfma_f32_16x16x32_fp8_fp8 v[12:15], a[104:105], a[0:1], 0// 000000003A38: D3F3000C 1A020168
	s_add_u32 s20, s57, s20                                    // 000000003A40: 80141439
	s_addc_u32 s21, 0, s21                                     // 000000003A44: 82151580
	s_add_u32 s28, s3, s28                                     // 000000003A48: 801C1C03
	s_addc_u32 s29, 0, s29                                     // 000000003A4C: 821D1D80
	v_mfma_f32_16x16x32_fp8_fp8 v[12:15], a[106:107], a[2:3], v[12:15]// 000000003A50: D3F3000C 1C32056A
	buffer_load_dwordx4 a[60:63], v37, s[84:87], 0 offen offset:1024// 000000003A58: E05C1400 80953C25
	v_mfma_f32_16x16x32_fp8_fp8 v[12:15], a[108:109], a[4:5], v[12:15]// 000000003A60: D3F3000C 1C32096C
	s_add_u32 s32, s4, s32                                     // 000000003A68: 80202004
	s_addc_u32 s33, 0, s33                                     // 000000003A6C: 82212180
	v_mfma_f32_16x16x32_fp8_fp8 v[12:15], a[110:111], a[6:7], v[12:15]// 000000003A70: D3F3000C 1C320D6E
	v_fma_f32 v64, v8, v6, v64                                 // 000000003A78: D1CB0040 05020D08
	v_fma_f32 v65, v9, v6, v65                                 // 000000003A80: D1CB0041 05060D09
	v_fma_f32 v66, v10, v6, v66                                // 000000003A88: D1CB0042 050A0D0A
	v_fma_f32 v67, v11, v6, v67                                // 000000003A90: D1CB0043 050E0D0B
	v_fma_f32 v68, v12, v6, v68                                // 000000003A98: D1CB0044 05120D0C
	v_fma_f32 v69, v13, v6, v69                                // 000000003AA0: D1CB0045 05160D0D
	v_fma_f32 v70, v14, v6, v70                                // 000000003AA8: D1CB0046 051A0D0E
	v_fma_f32 v71, v15, v6, v71                                // 000000003AB0: D1CB0047 051E0D0F
	buffer_load_dwordx4 a[64:67], v38, s[84:87], 0 offen       // 000000003AB8: E05C1000 80954026
	buffer_load_dwordx4 a[68:71], v38, s[84:87], 0 offen offset:1024// 000000003AC0: E05C1400 80954426
	buffer_load_dwordx4 a[72:75], v39, s[84:87], 0 offen       // 000000003AC8: E05C1000 80954827
	buffer_load_dwordx4 a[76:79], v39, s[84:87], 0 offen offset:1024// 000000003AD0: E05C1400 80954C27
	s_add_u32 s84, s83, s84                                    // 000000003AD8: 80545453
	s_addc_u32 s85, 0, s85                                     // 000000003ADC: 82555580
	s_addk_i32 s80, 0x80                                       // 000000003AE0: B7500080
	s_cmp_lt_i32 s80, s81                                      // 000000003AE4: BF045150
	s_cbranch_scc0 label_06C1                                  // 000000003AE8: BF840286
	s_waitcnt vmcnt(12) lgkmcnt(0)                             // 000000003AEC: BF8C007C
	v_mul_f32_dpp v4, v24, v31 row_newbcast:0 row_mask:0xf bank_mask:0xf// 000000003AF0: 0A083EFA FF015018
	v_mfma_f32_16x16x32_fp8_fp8 v[8:11], a[16:17], a[8:9], 0   // 000000003AF8: D3F30008 1A021110
	buffer_load_dword v25, v22, s[32:35], 0 offen              // 000000003B00: E0501000 80081916
	v_mfma_f32_16x16x32_fp8_fp8 v[8:11], a[18:19], a[10:11], v[8:11]// 000000003B08: D3F30008 1C221512
	buffer_load_dwordx4 a[80:83], v36, s[24:27], 0 offen       // 000000003B10: E05C1000 80865024
	v_mfma_f32_16x16x32_fp8_fp8 v[8:11], a[20:21], a[12:13], v[8:11]// 000000003B18: D3F30008 1C221914
	v_mfma_f32_16x16x32_fp8_fp8 v[8:11], a[22:23], a[14:15], v[8:11]// 000000003B20: D3F30008 1C221D16
	v_mfma_f32_16x16x32_fp8_fp8 v[12:15], a[24:25], a[8:9], 0  // 000000003B28: D3F3000C 1A021118
	v_mfma_f32_16x16x32_fp8_fp8 v[12:15], a[26:27], a[10:11], v[12:15]// 000000003B30: D3F3000C 1C32151A
	buffer_load_dwordx4 a[84:87], v36, s[24:27], 0 offen offset:1024// 000000003B38: E05C1400 80865424
	v_mfma_f32_16x16x32_fp8_fp8 v[12:15], a[28:29], a[12:13], v[12:15]// 000000003B40: D3F3000C 1C32191C
	v_mfma_f32_16x16x32_fp8_fp8 v[12:15], a[30:31], a[14:15], v[12:15]// 000000003B48: D3F3000C 1C321D1E
	v_fma_f32 v40, v8, v4, v40                                 // 000000003B50: D1CB0028 04A20908
	v_fma_f32 v41, v9, v4, v41                                 // 000000003B58: D1CB0029 04A60909
	v_fma_f32 v42, v10, v4, v42                                // 000000003B60: D1CB002A 04AA090A
	v_fma_f32 v43, v11, v4, v43                                // 000000003B68: D1CB002B 04AE090B
	v_mul_f32_dpp v6, v24, v31 row_newbcast:1 row_mask:0xf bank_mask:0xf// 000000003B70: 0A0C3EFA FF015118
	v_mfma_f32_16x16x32_fp8_fp8 v[8:11], a[32:33], a[8:9], 0   // 000000003B78: D3F30008 1A021120
	v_mfma_f32_16x16x32_fp8_fp8 v[8:11], a[34:35], a[10:11], v[8:11]// 000000003B80: D3F30008 1C221522
	buffer_load_dwordx4 a[88:91], v37, s[24:27], 0 offen       // 000000003B88: E05C1000 80865825
	v_mfma_f32_16x16x32_fp8_fp8 v[8:11], a[36:37], a[12:13], v[8:11]// 000000003B90: D3F30008 1C221924
	v_mfma_f32_16x16x32_fp8_fp8 v[8:11], a[38:39], a[14:15], v[8:11]// 000000003B98: D3F30008 1C221D26
	v_fma_f32 v44, v12, v4, v44                                // 000000003BA0: D1CB002C 04B2090C
	v_fma_f32 v45, v13, v4, v45                                // 000000003BA8: D1CB002D 04B6090D
	v_fma_f32 v46, v14, v4, v46                                // 000000003BB0: D1CB002E 04BA090E
	v_fma_f32 v47, v15, v4, v47                                // 000000003BB8: D1CB002F 04BE090F
	v_mfma_f32_16x16x32_fp8_fp8 v[12:15], a[40:41], a[8:9], 0  // 000000003BC0: D3F3000C 1A021128
	v_mfma_f32_16x16x32_fp8_fp8 v[12:15], a[42:43], a[10:11], v[12:15]// 000000003BC8: D3F3000C 1C32152A
	buffer_load_dwordx4 a[92:95], v37, s[24:27], 0 offen offset:1024// 000000003BD0: E05C1400 80865C25
	v_mfma_f32_16x16x32_fp8_fp8 v[12:15], a[44:45], a[12:13], v[12:15]// 000000003BD8: D3F3000C 1C32192C
	v_mfma_f32_16x16x32_fp8_fp8 v[12:15], a[46:47], a[14:15], v[12:15]// 000000003BE0: D3F3000C 1C321D2E
	v_fma_f32 v48, v8, v6, v48                                 // 000000003BE8: D1CB0030 04C20D08
	v_fma_f32 v49, v9, v6, v49                                 // 000000003BF0: D1CB0031 04C60D09
	v_fma_f32 v50, v10, v6, v50                                // 000000003BF8: D1CB0032 04CA0D0A
	v_fma_f32 v51, v11, v6, v51                                // 000000003C00: D1CB0033 04CE0D0B
	v_fma_f32 v52, v12, v6, v52                                // 000000003C08: D1CB0034 04D20D0C
	v_fma_f32 v53, v13, v6, v53                                // 000000003C10: D1CB0035 04D60D0D
	v_fma_f32 v54, v14, v6, v54                                // 000000003C18: D1CB0036 04DA0D0E
	v_fma_f32 v55, v15, v6, v55                                // 000000003C20: D1CB0037 04DE0D0F
	buffer_load_dwordx4 a[96:99], v38, s[24:27], 0 offen       // 000000003C28: E05C1000 80866026
	buffer_load_dwordx4 a[100:103], v38, s[24:27], 0 offen offset:1024// 000000003C30: E05C1400 80866426
	buffer_load_dwordx4 a[104:107], v39, s[24:27], 0 offen     // 000000003C38: E05C1000 80866827
	buffer_load_dwordx4 a[108:111], v39, s[24:27], 0 offen offset:1024// 000000003C40: E05C1400 80866C27
	buffer_load_dword v34, s[20:23], 0 offen lds               // 000000003C48: E0511000 80050022
	s_add_u32 m0, 0x100, s50                                   // 000000003C50: 807C32FF 00000100
	buffer_load_dword v35, s[20:23], 0 offen lds               // 000000003C58: E0511000 80050023
	s_add_u32 m0, 0, s48                                       // 000000003C60: 807C3080
	buffer_load_dword v33, v30, s[28:31], 0 offen              // 000000003C64: E0501000 8007211E
	s_waitcnt vmcnt(12)                                        // 000000003C6C: BF8C0F7C
	s_barrier                                                  // 000000003C70: BF8A0000
	v_mul_f32_dpp v4, v27, v31 row_newbcast:0 row_mask:0xf bank_mask:0xf// 000000003C74: 0A083EFA FF01501B
	v_mfma_f32_16x16x32_fp8_fp8 v[8:11], a[48:49], a[8:9], 0   // 000000003C7C: D3F30008 1A021130
	buffer_load_dword v28, v23, s[32:35], 0 offen              // 000000003C84: E0501000 80081C17
	v_mfma_f32_16x16x32_fp8_fp8 v[8:11], a[50:51], a[10:11], v[8:11]// 000000003C8C: D3F30008 1C221532
	buffer_load_dwordx4 a[16:19], v36, s[84:87], 0 offen       // 000000003C94: E05C1000 80951024
	v_mfma_f32_16x16x32_fp8_fp8 v[8:11], a[52:53], a[12:13], v[8:11]// 000000003C9C: D3F30008 1C221934
	v_mfma_f32_16x16x32_fp8_fp8 v[8:11], a[54:55], a[14:15], v[8:11]// 000000003CA4: D3F30008 1C221D36
	ds_read_b128 a[0:3], v2 offset:2176                        // 000000003CAC: DBFE0880 00000002
	ds_read_b128 a[4:7], v2 offset:2240                        // 000000003CB4: DBFE08C0 04000002
	v_mfma_f32_16x16x32_fp8_fp8 v[12:15], a[56:57], a[8:9], 0  // 000000003CBC: D3F3000C 1A021138
	v_mfma_f32_16x16x32_fp8_fp8 v[12:15], a[58:59], a[10:11], v[12:15]// 000000003CC4: D3F3000C 1C32153A
	buffer_load_dwordx4 a[20:23], v36, s[84:87], 0 offen offset:1024// 000000003CCC: E05C1400 80951424
	v_mfma_f32_16x16x32_fp8_fp8 v[12:15], a[60:61], a[12:13], v[12:15]// 000000003CD4: D3F3000C 1C32193C
	v_mfma_f32_16x16x32_fp8_fp8 v[12:15], a[62:63], a[14:15], v[12:15]// 000000003CDC: D3F3000C 1C321D3E
	v_fma_f32 v56, v8, v4, v56                                 // 000000003CE4: D1CB0038 04E20908
	v_fma_f32 v57, v9, v4, v57                                 // 000000003CEC: D1CB0039 04E60909
	v_fma_f32 v58, v10, v4, v58                                // 000000003CF4: D1CB003A 04EA090A
	v_fma_f32 v59, v11, v4, v59                                // 000000003CFC: D1CB003B 04EE090B
	v_mul_f32_dpp v6, v27, v31 row_newbcast:1 row_mask:0xf bank_mask:0xf// 000000003D04: 0A0C3EFA FF01511B
	v_mfma_f32_16x16x32_fp8_fp8 v[8:11], a[64:65], a[8:9], 0   // 000000003D0C: D3F30008 1A021140
	s_add_u32 s60, 0x180, s80                                  // 000000003D14: 803C50FF 00000180
	s_cmp_lt_u32 s60, s81                                      // 000000003D1C: BF0A513C
	s_cselect_b32 s57, s57, 0                                  // 000000003D20: 85398039
	s_cselect_b32 s3, s3, 0                                    // 000000003D24: 85038003
	v_mfma_f32_16x16x32_fp8_fp8 v[8:11], a[66:67], a[10:11], v[8:11]// 000000003D28: D3F30008 1C221542
	buffer_load_dwordx4 a[24:27], v37, s[84:87], 0 offen       // 000000003D30: E05C1000 80951825
	s_add_u32 s60, 0x100, s80                                  // 000000003D38: 803C50FF 00000100
	s_cmp_lt_u32 s60, s81                                      // 000000003D40: BF0A513C
	s_cselect_b32 s58, s58, 0                                  // 000000003D44: 853A803A
	v_mfma_f32_16x16x32_fp8_fp8 v[8:11], a[68:69], a[12:13], v[8:11]// 000000003D48: D3F30008 1C221944
	s_add_u32 s60, 0x100, s80                                  // 000000003D50: 803C50FF 00000100
	s_cmp_lt_u32 s60, s81                                      // 000000003D58: BF0A513C
	s_cselect_b32 s83, s83, 0                                  // 000000003D5C: 85538053
	s_cselect_b32 s4, s4, 0                                    // 000000003D60: 85048004
	v_mfma_f32_16x16x32_fp8_fp8 v[8:11], a[70:71], a[14:15], v[8:11]// 000000003D64: D3F30008 1C221D46
	s_add_u32 s24, s58, s24                                    // 000000003D6C: 8018183A
	s_addc_u32 s25, 0, s25                                     // 000000003D70: 82191980
	v_fma_f32 v60, v12, v4, v60                                // 000000003D74: D1CB003C 04F2090C
	v_fma_f32 v61, v13, v4, v61                                // 000000003D7C: D1CB003D 04F6090D
	v_fma_f32 v62, v14, v4, v62                                // 000000003D84: D1CB003E 04FA090E
	v_fma_f32 v63, v15, v4, v63                                // 000000003D8C: D1CB003F 04FE090F
	v_mfma_f32_16x16x32_fp8_fp8 v[12:15], a[72:73], a[8:9], 0  // 000000003D94: D3F3000C 1A021148
	s_add_u32 s20, s57, s20                                    // 000000003D9C: 80141439
	s_addc_u32 s21, 0, s21                                     // 000000003DA0: 82151580
	s_add_u32 s28, s3, s28                                     // 000000003DA4: 801C1C03
	s_addc_u32 s29, 0, s29                                     // 000000003DA8: 821D1D80
	v_mfma_f32_16x16x32_fp8_fp8 v[12:15], a[74:75], a[10:11], v[12:15]// 000000003DAC: D3F3000C 1C32154A
	buffer_load_dwordx4 a[28:31], v37, s[84:87], 0 offen offset:1024// 000000003DB4: E05C1400 80951C25
	v_mfma_f32_16x16x32_fp8_fp8 v[12:15], a[76:77], a[12:13], v[12:15]// 000000003DBC: D3F3000C 1C32194C
	s_add_u32 s32, s4, s32                                     // 000000003DC4: 80202004
	s_addc_u32 s33, 0, s33                                     // 000000003DC8: 82212180
	v_mfma_f32_16x16x32_fp8_fp8 v[12:15], a[78:79], a[14:15], v[12:15]// 000000003DCC: D3F3000C 1C321D4E
	v_fma_f32 v64, v8, v6, v64                                 // 000000003DD4: D1CB0040 05020D08
	v_fma_f32 v65, v9, v6, v65                                 // 000000003DDC: D1CB0041 05060D09
	v_fma_f32 v66, v10, v6, v66                                // 000000003DE4: D1CB0042 050A0D0A
	v_fma_f32 v67, v11, v6, v67                                // 000000003DEC: D1CB0043 050E0D0B
	v_fma_f32 v68, v12, v6, v68                                // 000000003DF4: D1CB0044 05120D0C
	v_fma_f32 v69, v13, v6, v69                                // 000000003DFC: D1CB0045 05160D0D
	v_fma_f32 v70, v14, v6, v70                                // 000000003E04: D1CB0046 051A0D0E
	v_fma_f32 v71, v15, v6, v71                                // 000000003E0C: D1CB0047 051E0D0F
	buffer_load_dwordx4 a[32:35], v38, s[84:87], 0 offen       // 000000003E14: E05C1000 80952026
	buffer_load_dwordx4 a[36:39], v38, s[84:87], 0 offen offset:1024// 000000003E1C: E05C1400 80952426
	buffer_load_dwordx4 a[40:43], v39, s[84:87], 0 offen       // 000000003E24: E05C1000 80952827
	buffer_load_dwordx4 a[44:47], v39, s[84:87], 0 offen offset:1024// 000000003E2C: E05C1400 80952C27
	s_add_u32 s84, s83, s84                                    // 000000003E34: 80545453
	s_addc_u32 s85, 0, s85                                     // 000000003E38: 82555580
	s_addk_i32 s80, 0x80                                       // 000000003E3C: B7500080
	s_cmp_lt_i32 s80, s81                                      // 000000003E40: BF045150
	s_cbranch_scc0 label_06C1                                  // 000000003E44: BF8401AF
	s_waitcnt vmcnt(12) lgkmcnt(0)                             // 000000003E48: BF8C007C
	v_mul_f32_dpp v4, v25, v32 row_newbcast:0 row_mask:0xf bank_mask:0xf// 000000003E4C: 0A0840FA FF015019
	v_mfma_f32_16x16x32_fp8_fp8 v[8:11], a[80:81], a[0:1], 0   // 000000003E54: D3F30008 1A020150
	buffer_load_dword v26, v22, s[32:35], 0 offen              // 000000003E5C: E0501000 80081A16
	v_mfma_f32_16x16x32_fp8_fp8 v[8:11], a[82:83], a[2:3], v[8:11]// 000000003E64: D3F30008 1C220552
	buffer_load_dwordx4 a[48:51], v36, s[24:27], 0 offen       // 000000003E6C: E05C1000 80863024
	v_mfma_f32_16x16x32_fp8_fp8 v[8:11], a[84:85], a[4:5], v[8:11]// 000000003E74: D3F30008 1C220954
	v_mfma_f32_16x16x32_fp8_fp8 v[8:11], a[86:87], a[6:7], v[8:11]// 000000003E7C: D3F30008 1C220D56
	v_mfma_f32_16x16x32_fp8_fp8 v[12:15], a[88:89], a[0:1], 0  // 000000003E84: D3F3000C 1A020158
	v_mfma_f32_16x16x32_fp8_fp8 v[12:15], a[90:91], a[2:3], v[12:15]// 000000003E8C: D3F3000C 1C32055A
	buffer_load_dwordx4 a[52:55], v36, s[24:27], 0 offen offset:1024// 000000003E94: E05C1400 80863424
	v_mfma_f32_16x16x32_fp8_fp8 v[12:15], a[92:93], a[4:5], v[12:15]// 000000003E9C: D3F3000C 1C32095C
	v_mfma_f32_16x16x32_fp8_fp8 v[12:15], a[94:95], a[6:7], v[12:15]// 000000003EA4: D3F3000C 1C320D5E
	v_fma_f32 v40, v8, v4, v40                                 // 000000003EAC: D1CB0028 04A20908
	v_fma_f32 v41, v9, v4, v41                                 // 000000003EB4: D1CB0029 04A60909
	v_fma_f32 v42, v10, v4, v42                                // 000000003EBC: D1CB002A 04AA090A
	v_fma_f32 v43, v11, v4, v43                                // 000000003EC4: D1CB002B 04AE090B
	v_mul_f32_dpp v6, v25, v32 row_newbcast:1 row_mask:0xf bank_mask:0xf// 000000003ECC: 0A0C40FA FF015119
	v_mfma_f32_16x16x32_fp8_fp8 v[8:11], a[96:97], a[0:1], 0   // 000000003ED4: D3F30008 1A020160
	v_mfma_f32_16x16x32_fp8_fp8 v[8:11], a[98:99], a[2:3], v[8:11]// 000000003EDC: D3F30008 1C220562
	buffer_load_dwordx4 a[56:59], v37, s[24:27], 0 offen       // 000000003EE4: E05C1000 80863825
	v_mfma_f32_16x16x32_fp8_fp8 v[8:11], a[100:101], a[4:5], v[8:11]// 000000003EEC: D3F30008 1C220964
	v_mfma_f32_16x16x32_fp8_fp8 v[8:11], a[102:103], a[6:7], v[8:11]// 000000003EF4: D3F30008 1C220D66
	v_fma_f32 v44, v12, v4, v44                                // 000000003EFC: D1CB002C 04B2090C
	v_fma_f32 v45, v13, v4, v45                                // 000000003F04: D1CB002D 04B6090D
	v_fma_f32 v46, v14, v4, v46                                // 000000003F0C: D1CB002E 04BA090E
	v_fma_f32 v47, v15, v4, v47                                // 000000003F14: D1CB002F 04BE090F
	v_mfma_f32_16x16x32_fp8_fp8 v[12:15], a[104:105], a[0:1], 0// 000000003F1C: D3F3000C 1A020168
	v_mfma_f32_16x16x32_fp8_fp8 v[12:15], a[106:107], a[2:3], v[12:15]// 000000003F24: D3F3000C 1C32056A
	buffer_load_dwordx4 a[60:63], v37, s[24:27], 0 offen offset:1024// 000000003F2C: E05C1400 80863C25
	v_mfma_f32_16x16x32_fp8_fp8 v[12:15], a[108:109], a[4:5], v[12:15]// 000000003F34: D3F3000C 1C32096C
	v_mfma_f32_16x16x32_fp8_fp8 v[12:15], a[110:111], a[6:7], v[12:15]// 000000003F3C: D3F3000C 1C320D6E
	v_fma_f32 v48, v8, v6, v48                                 // 000000003F44: D1CB0030 04C20D08
	v_fma_f32 v49, v9, v6, v49                                 // 000000003F4C: D1CB0031 04C60D09
	v_fma_f32 v50, v10, v6, v50                                // 000000003F54: D1CB0032 04CA0D0A
	v_fma_f32 v51, v11, v6, v51                                // 000000003F5C: D1CB0033 04CE0D0B
	v_fma_f32 v52, v12, v6, v52                                // 000000003F64: D1CB0034 04D20D0C
	v_fma_f32 v53, v13, v6, v53                                // 000000003F6C: D1CB0035 04D60D0D
	v_fma_f32 v54, v14, v6, v54                                // 000000003F74: D1CB0036 04DA0D0E
	v_fma_f32 v55, v15, v6, v55                                // 000000003F7C: D1CB0037 04DE0D0F
	buffer_load_dwordx4 a[64:67], v38, s[24:27], 0 offen       // 000000003F84: E05C1000 80864026
	buffer_load_dwordx4 a[68:71], v38, s[24:27], 0 offen offset:1024// 000000003F8C: E05C1400 80864426
	buffer_load_dwordx4 a[72:75], v39, s[24:27], 0 offen       // 000000003F94: E05C1000 80864827
	buffer_load_dwordx4 a[76:79], v39, s[24:27], 0 offen offset:1024// 000000003F9C: E05C1400 80864C27
	buffer_load_dword v34, s[20:23], 0 offen lds               // 000000003FA4: E0511000 80050022
	s_add_u32 m0, 0x100, s48                                   // 000000003FAC: 807C30FF 00000100
	buffer_load_dword v35, s[20:23], 0 offen lds               // 000000003FB4: E0511000 80050023
	s_add_u32 m0, 0, s49                                       // 000000003FBC: 807C3180
	buffer_load_dword v31, v30, s[28:31], 0 offen              // 000000003FC0: E0501000 80071F1E
	s_waitcnt vmcnt(12)                                        // 000000003FC8: BF8C0F7C
	s_barrier                                                  // 000000003FCC: BF8A0000
	v_mul_f32_dpp v4, v28, v32 row_newbcast:0 row_mask:0xf bank_mask:0xf// 000000003FD0: 0A0840FA FF01501C
	v_mfma_f32_16x16x32_fp8_fp8 v[8:11], a[16:17], a[0:1], 0   // 000000003FD8: D3F30008 1A020110
	buffer_load_dword v29, v23, s[32:35], 0 offen              // 000000003FE0: E0501000 80081D17
	v_mfma_f32_16x16x32_fp8_fp8 v[8:11], a[18:19], a[2:3], v[8:11]// 000000003FE8: D3F30008 1C220512
	buffer_load_dwordx4 a[80:83], v36, s[84:87], 0 offen       // 000000003FF0: E05C1000 80955024
	v_mfma_f32_16x16x32_fp8_fp8 v[8:11], a[20:21], a[4:5], v[8:11]// 000000003FF8: D3F30008 1C220914
	v_mfma_f32_16x16x32_fp8_fp8 v[8:11], a[22:23], a[6:7], v[8:11]// 000000004000: D3F30008 1C220D16
	ds_read_b128 a[8:11], v2 offset:4352                       // 000000004008: DBFE1100 08000002
	ds_read_b128 a[12:15], v2 offset:4416                      // 000000004010: DBFE1140 0C000002
	v_mfma_f32_16x16x32_fp8_fp8 v[12:15], a[24:25], a[0:1], 0  // 000000004018: D3F3000C 1A020118
	v_mfma_f32_16x16x32_fp8_fp8 v[12:15], a[26:27], a[2:3], v[12:15]// 000000004020: D3F3000C 1C32051A
	buffer_load_dwordx4 a[84:87], v36, s[84:87], 0 offen offset:1024// 000000004028: E05C1400 80955424
	v_mfma_f32_16x16x32_fp8_fp8 v[12:15], a[28:29], a[4:5], v[12:15]// 000000004030: D3F3000C 1C32091C
	v_mfma_f32_16x16x32_fp8_fp8 v[12:15], a[30:31], a[6:7], v[12:15]// 000000004038: D3F3000C 1C320D1E
	v_fma_f32 v56, v8, v4, v56                                 // 000000004040: D1CB0038 04E20908
	v_fma_f32 v57, v9, v4, v57                                 // 000000004048: D1CB0039 04E60909
	v_fma_f32 v58, v10, v4, v58                                // 000000004050: D1CB003A 04EA090A
	v_fma_f32 v59, v11, v4, v59                                // 000000004058: D1CB003B 04EE090B
	v_mul_f32_dpp v6, v28, v32 row_newbcast:1 row_mask:0xf bank_mask:0xf// 000000004060: 0A0C40FA FF01511C
	v_mfma_f32_16x16x32_fp8_fp8 v[8:11], a[32:33], a[0:1], 0   // 000000004068: D3F30008 1A020120
	s_add_u32 s60, 0x180, s80                                  // 000000004070: 803C50FF 00000180
	s_cmp_lt_u32 s60, s81                                      // 000000004078: BF0A513C
	s_cselect_b32 s57, s57, 0                                  // 00000000407C: 85398039
	s_cselect_b32 s3, s3, 0                                    // 000000004080: 85038003
	v_mfma_f32_16x16x32_fp8_fp8 v[8:11], a[34:35], a[2:3], v[8:11]// 000000004084: D3F30008 1C220522
	buffer_load_dwordx4 a[88:91], v37, s[84:87], 0 offen       // 00000000408C: E05C1000 80955825
	s_add_u32 s60, 0x100, s80                                  // 000000004094: 803C50FF 00000100
	s_cmp_lt_u32 s60, s81                                      // 00000000409C: BF0A513C
	s_cselect_b32 s58, s58, 0                                  // 0000000040A0: 853A803A
	v_mfma_f32_16x16x32_fp8_fp8 v[8:11], a[36:37], a[4:5], v[8:11]// 0000000040A4: D3F30008 1C220924
	s_add_u32 s60, 0x100, s80                                  // 0000000040AC: 803C50FF 00000100
	s_cmp_lt_u32 s60, s81                                      // 0000000040B4: BF0A513C
	s_cselect_b32 s83, s83, 0                                  // 0000000040B8: 85538053
	s_cselect_b32 s4, s4, 0                                    // 0000000040BC: 85048004
	v_mfma_f32_16x16x32_fp8_fp8 v[8:11], a[38:39], a[6:7], v[8:11]// 0000000040C0: D3F30008 1C220D26
	s_add_u32 s24, s58, s24                                    // 0000000040C8: 8018183A
	s_addc_u32 s25, 0, s25                                     // 0000000040CC: 82191980
	v_fma_f32 v60, v12, v4, v60                                // 0000000040D0: D1CB003C 04F2090C
	v_fma_f32 v61, v13, v4, v61                                // 0000000040D8: D1CB003D 04F6090D
	v_fma_f32 v62, v14, v4, v62                                // 0000000040E0: D1CB003E 04FA090E
	v_fma_f32 v63, v15, v4, v63                                // 0000000040E8: D1CB003F 04FE090F
	v_mfma_f32_16x16x32_fp8_fp8 v[12:15], a[40:41], a[0:1], 0  // 0000000040F0: D3F3000C 1A020128
	s_add_u32 s20, s57, s20                                    // 0000000040F8: 80141439
	s_addc_u32 s21, 0, s21                                     // 0000000040FC: 82151580
	s_add_u32 s28, s3, s28                                     // 000000004100: 801C1C03
	s_addc_u32 s29, 0, s29                                     // 000000004104: 821D1D80
	v_mfma_f32_16x16x32_fp8_fp8 v[12:15], a[42:43], a[2:3], v[12:15]// 000000004108: D3F3000C 1C32052A
	buffer_load_dwordx4 a[92:95], v37, s[84:87], 0 offen offset:1024// 000000004110: E05C1400 80955C25
	v_mfma_f32_16x16x32_fp8_fp8 v[12:15], a[44:45], a[4:5], v[12:15]// 000000004118: D3F3000C 1C32092C
	s_add_u32 s32, s4, s32                                     // 000000004120: 80202004
	s_addc_u32 s33, 0, s33                                     // 000000004124: 82212180
	v_mfma_f32_16x16x32_fp8_fp8 v[12:15], a[46:47], a[6:7], v[12:15]// 000000004128: D3F3000C 1C320D2E
	v_fma_f32 v64, v8, v6, v64                                 // 000000004130: D1CB0040 05020D08
	v_fma_f32 v65, v9, v6, v65                                 // 000000004138: D1CB0041 05060D09
	v_fma_f32 v66, v10, v6, v66                                // 000000004140: D1CB0042 050A0D0A
	v_fma_f32 v67, v11, v6, v67                                // 000000004148: D1CB0043 050E0D0B
	v_fma_f32 v68, v12, v6, v68                                // 000000004150: D1CB0044 05120D0C
	v_fma_f32 v69, v13, v6, v69                                // 000000004158: D1CB0045 05160D0D
	v_fma_f32 v70, v14, v6, v70                                // 000000004160: D1CB0046 051A0D0E
	v_fma_f32 v71, v15, v6, v71                                // 000000004168: D1CB0047 051E0D0F
	buffer_load_dwordx4 a[96:99], v38, s[84:87], 0 offen       // 000000004170: E05C1000 80956026
	buffer_load_dwordx4 a[100:103], v38, s[84:87], 0 offen offset:1024// 000000004178: E05C1400 80956426
	buffer_load_dwordx4 a[104:107], v39, s[84:87], 0 offen     // 000000004180: E05C1000 80956827
	buffer_load_dwordx4 a[108:111], v39, s[84:87], 0 offen offset:1024// 000000004188: E05C1400 80956C27
	s_add_u32 s84, s83, s84                                    // 000000004190: 80545453
	s_addc_u32 s85, 0, s85                                     // 000000004194: 82555580
	s_addk_i32 s80, 0x80                                       // 000000004198: B7500080
	s_cmp_lt_i32 s80, s81                                      // 00000000419C: BF045150
	s_cbranch_scc0 label_06C1                                  // 0000000041A0: BF8400D8
	s_waitcnt vmcnt(12) lgkmcnt(0)                             // 0000000041A4: BF8C007C
	v_mul_f32_dpp v4, v26, v33 row_newbcast:0 row_mask:0xf bank_mask:0xf// 0000000041A8: 0A0842FA FF01501A
	v_mfma_f32_16x16x32_fp8_fp8 v[8:11], a[48:49], a[8:9], 0   // 0000000041B0: D3F30008 1A021130
	buffer_load_dword v24, v22, s[32:35], 0 offen              // 0000000041B8: E0501000 80081816
	v_mfma_f32_16x16x32_fp8_fp8 v[8:11], a[50:51], a[10:11], v[8:11]// 0000000041C0: D3F30008 1C221532
	buffer_load_dwordx4 a[16:19], v36, s[24:27], 0 offen       // 0000000041C8: E05C1000 80861024
	v_mfma_f32_16x16x32_fp8_fp8 v[8:11], a[52:53], a[12:13], v[8:11]// 0000000041D0: D3F30008 1C221934
	v_mfma_f32_16x16x32_fp8_fp8 v[8:11], a[54:55], a[14:15], v[8:11]// 0000000041D8: D3F30008 1C221D36
	v_mfma_f32_16x16x32_fp8_fp8 v[12:15], a[56:57], a[8:9], 0  // 0000000041E0: D3F3000C 1A021138
	v_mfma_f32_16x16x32_fp8_fp8 v[12:15], a[58:59], a[10:11], v[12:15]// 0000000041E8: D3F3000C 1C32153A
	buffer_load_dwordx4 a[20:23], v36, s[24:27], 0 offen offset:1024// 0000000041F0: E05C1400 80861424
	v_mfma_f32_16x16x32_fp8_fp8 v[12:15], a[60:61], a[12:13], v[12:15]// 0000000041F8: D3F3000C 1C32193C
	v_mfma_f32_16x16x32_fp8_fp8 v[12:15], a[62:63], a[14:15], v[12:15]// 000000004200: D3F3000C 1C321D3E
	v_fma_f32 v40, v8, v4, v40                                 // 000000004208: D1CB0028 04A20908
	v_fma_f32 v41, v9, v4, v41                                 // 000000004210: D1CB0029 04A60909
	v_fma_f32 v42, v10, v4, v42                                // 000000004218: D1CB002A 04AA090A
	v_fma_f32 v43, v11, v4, v43                                // 000000004220: D1CB002B 04AE090B
	v_mul_f32_dpp v6, v26, v33 row_newbcast:1 row_mask:0xf bank_mask:0xf// 000000004228: 0A0C42FA FF01511A
	v_mfma_f32_16x16x32_fp8_fp8 v[8:11], a[64:65], a[8:9], 0   // 000000004230: D3F30008 1A021140
	v_mfma_f32_16x16x32_fp8_fp8 v[8:11], a[66:67], a[10:11], v[8:11]// 000000004238: D3F30008 1C221542
	buffer_load_dwordx4 a[24:27], v37, s[24:27], 0 offen       // 000000004240: E05C1000 80861825
	v_mfma_f32_16x16x32_fp8_fp8 v[8:11], a[68:69], a[12:13], v[8:11]// 000000004248: D3F30008 1C221944
	v_mfma_f32_16x16x32_fp8_fp8 v[8:11], a[70:71], a[14:15], v[8:11]// 000000004250: D3F30008 1C221D46
	v_fma_f32 v44, v12, v4, v44                                // 000000004258: D1CB002C 04B2090C
	v_fma_f32 v45, v13, v4, v45                                // 000000004260: D1CB002D 04B6090D
	v_fma_f32 v46, v14, v4, v46                                // 000000004268: D1CB002E 04BA090E
	v_fma_f32 v47, v15, v4, v47                                // 000000004270: D1CB002F 04BE090F
	v_mfma_f32_16x16x32_fp8_fp8 v[12:15], a[72:73], a[8:9], 0  // 000000004278: D3F3000C 1A021148
	v_mfma_f32_16x16x32_fp8_fp8 v[12:15], a[74:75], a[10:11], v[12:15]// 000000004280: D3F3000C 1C32154A
	buffer_load_dwordx4 a[28:31], v37, s[24:27], 0 offen offset:1024// 000000004288: E05C1400 80861C25
	v_mfma_f32_16x16x32_fp8_fp8 v[12:15], a[76:77], a[12:13], v[12:15]// 000000004290: D3F3000C 1C32194C
	v_mfma_f32_16x16x32_fp8_fp8 v[12:15], a[78:79], a[14:15], v[12:15]// 000000004298: D3F3000C 1C321D4E
	v_fma_f32 v48, v8, v6, v48                                 // 0000000042A0: D1CB0030 04C20D08
	v_fma_f32 v49, v9, v6, v49                                 // 0000000042A8: D1CB0031 04C60D09
	v_fma_f32 v50, v10, v6, v50                                // 0000000042B0: D1CB0032 04CA0D0A
	v_fma_f32 v51, v11, v6, v51                                // 0000000042B8: D1CB0033 04CE0D0B
	v_fma_f32 v52, v12, v6, v52                                // 0000000042C0: D1CB0034 04D20D0C
	v_fma_f32 v53, v13, v6, v53                                // 0000000042C8: D1CB0035 04D60D0D
	v_fma_f32 v54, v14, v6, v54                                // 0000000042D0: D1CB0036 04DA0D0E
	v_fma_f32 v55, v15, v6, v55                                // 0000000042D8: D1CB0037 04DE0D0F
	buffer_load_dwordx4 a[32:35], v38, s[24:27], 0 offen       // 0000000042E0: E05C1000 80862026
	buffer_load_dwordx4 a[36:39], v38, s[24:27], 0 offen offset:1024// 0000000042E8: E05C1400 80862426
	buffer_load_dwordx4 a[40:43], v39, s[24:27], 0 offen       // 0000000042F0: E05C1000 80862827
	buffer_load_dwordx4 a[44:47], v39, s[24:27], 0 offen offset:1024// 0000000042F8: E05C1400 80862C27
	buffer_load_dword v34, s[20:23], 0 offen lds               // 000000004300: E0511000 80050022
	s_add_u32 m0, 0x100, s49                                   // 000000004308: 807C31FF 00000100
	buffer_load_dword v35, s[20:23], 0 offen lds               // 000000004310: E0511000 80050023
	s_add_u32 m0, 0, s50                                       // 000000004318: 807C3280
	buffer_load_dword v32, v30, s[28:31], 0 offen              // 00000000431C: E0501000 8007201E
	s_waitcnt vmcnt(12)                                        // 000000004324: BF8C0F7C
	s_barrier                                                  // 000000004328: BF8A0000
	v_mul_f32_dpp v4, v29, v33 row_newbcast:0 row_mask:0xf bank_mask:0xf// 00000000432C: 0A0842FA FF01501D
	v_mfma_f32_16x16x32_fp8_fp8 v[8:11], a[80:81], a[8:9], 0   // 000000004334: D3F30008 1A021150
	buffer_load_dword v27, v23, s[32:35], 0 offen              // 00000000433C: E0501000 80081B17
	v_mfma_f32_16x16x32_fp8_fp8 v[8:11], a[82:83], a[10:11], v[8:11]// 000000004344: D3F30008 1C221552
	buffer_load_dwordx4 a[48:51], v36, s[84:87], 0 offen       // 00000000434C: E05C1000 80953024
	v_mfma_f32_16x16x32_fp8_fp8 v[8:11], a[84:85], a[12:13], v[8:11]// 000000004354: D3F30008 1C221954
	v_mfma_f32_16x16x32_fp8_fp8 v[8:11], a[86:87], a[14:15], v[8:11]// 00000000435C: D3F30008 1C221D56
	ds_read_b128 a[0:3], v2                                    // 000000004364: DBFE0000 00000002
	ds_read_b128 a[4:7], v2 offset:64                          // 00000000436C: DBFE0040 04000002
	v_mfma_f32_16x16x32_fp8_fp8 v[12:15], a[88:89], a[8:9], 0  // 000000004374: D3F3000C 1A021158
	v_mfma_f32_16x16x32_fp8_fp8 v[12:15], a[90:91], a[10:11], v[12:15]// 00000000437C: D3F3000C 1C32155A
	buffer_load_dwordx4 a[52:55], v36, s[84:87], 0 offen offset:1024// 000000004384: E05C1400 80953424
	v_mfma_f32_16x16x32_fp8_fp8 v[12:15], a[92:93], a[12:13], v[12:15]// 00000000438C: D3F3000C 1C32195C
	v_mfma_f32_16x16x32_fp8_fp8 v[12:15], a[94:95], a[14:15], v[12:15]// 000000004394: D3F3000C 1C321D5E
	v_fma_f32 v56, v8, v4, v56                                 // 00000000439C: D1CB0038 04E20908
	v_fma_f32 v57, v9, v4, v57                                 // 0000000043A4: D1CB0039 04E60909
	v_fma_f32 v58, v10, v4, v58                                // 0000000043AC: D1CB003A 04EA090A
	v_fma_f32 v59, v11, v4, v59                                // 0000000043B4: D1CB003B 04EE090B
	v_mul_f32_dpp v6, v29, v33 row_newbcast:1 row_mask:0xf bank_mask:0xf// 0000000043BC: 0A0C42FA FF01511D
	v_mfma_f32_16x16x32_fp8_fp8 v[8:11], a[96:97], a[8:9], 0   // 0000000043C4: D3F30008 1A021160
	s_add_u32 s60, 0x180, s80                                  // 0000000043CC: 803C50FF 00000180
	s_cmp_lt_u32 s60, s81                                      // 0000000043D4: BF0A513C
	s_cselect_b32 s57, s57, 0                                  // 0000000043D8: 85398039
	s_cselect_b32 s3, s3, 0                                    // 0000000043DC: 85038003
	v_mfma_f32_16x16x32_fp8_fp8 v[8:11], a[98:99], a[10:11], v[8:11]// 0000000043E0: D3F30008 1C221562
	buffer_load_dwordx4 a[56:59], v37, s[84:87], 0 offen       // 0000000043E8: E05C1000 80953825
	s_add_u32 s60, 0x100, s80                                  // 0000000043F0: 803C50FF 00000100
	s_cmp_lt_u32 s60, s81                                      // 0000000043F8: BF0A513C
	s_cselect_b32 s58, s58, 0                                  // 0000000043FC: 853A803A
	v_mfma_f32_16x16x32_fp8_fp8 v[8:11], a[100:101], a[12:13], v[8:11]// 000000004400: D3F30008 1C221964
	s_add_u32 s60, 0x100, s80                                  // 000000004408: 803C50FF 00000100
	s_cmp_lt_u32 s60, s81                                      // 000000004410: BF0A513C
	s_cselect_b32 s83, s83, 0                                  // 000000004414: 85538053
	s_cselect_b32 s4, s4, 0                                    // 000000004418: 85048004
	v_mfma_f32_16x16x32_fp8_fp8 v[8:11], a[102:103], a[14:15], v[8:11]// 00000000441C: D3F30008 1C221D66
	s_add_u32 s24, s58, s24                                    // 000000004424: 8018183A
	s_addc_u32 s25, 0, s25                                     // 000000004428: 82191980
	v_fma_f32 v60, v12, v4, v60                                // 00000000442C: D1CB003C 04F2090C
	v_fma_f32 v61, v13, v4, v61                                // 000000004434: D1CB003D 04F6090D
	v_fma_f32 v62, v14, v4, v62                                // 00000000443C: D1CB003E 04FA090E
	v_fma_f32 v63, v15, v4, v63                                // 000000004444: D1CB003F 04FE090F
	v_mfma_f32_16x16x32_fp8_fp8 v[12:15], a[104:105], a[8:9], 0// 00000000444C: D3F3000C 1A021168
	s_add_u32 s20, s57, s20                                    // 000000004454: 80141439
	s_addc_u32 s21, 0, s21                                     // 000000004458: 82151580
	s_add_u32 s28, s3, s28                                     // 00000000445C: 801C1C03
	s_addc_u32 s29, 0, s29                                     // 000000004460: 821D1D80
	v_mfma_f32_16x16x32_fp8_fp8 v[12:15], a[106:107], a[10:11], v[12:15]// 000000004464: D3F3000C 1C32156A
	buffer_load_dwordx4 a[60:63], v37, s[84:87], 0 offen offset:1024// 00000000446C: E05C1400 80953C25
	v_mfma_f32_16x16x32_fp8_fp8 v[12:15], a[108:109], a[12:13], v[12:15]// 000000004474: D3F3000C 1C32196C
	s_add_u32 s32, s4, s32                                     // 00000000447C: 80202004
	s_addc_u32 s33, 0, s33                                     // 000000004480: 82212180
	v_mfma_f32_16x16x32_fp8_fp8 v[12:15], a[110:111], a[14:15], v[12:15]// 000000004484: D3F3000C 1C321D6E
	v_fma_f32 v64, v8, v6, v64                                 // 00000000448C: D1CB0040 05020D08
	v_fma_f32 v65, v9, v6, v65                                 // 000000004494: D1CB0041 05060D09
	v_fma_f32 v66, v10, v6, v66                                // 00000000449C: D1CB0042 050A0D0A
	v_fma_f32 v67, v11, v6, v67                                // 0000000044A4: D1CB0043 050E0D0B
	v_fma_f32 v68, v12, v6, v68                                // 0000000044AC: D1CB0044 05120D0C
	v_fma_f32 v69, v13, v6, v69                                // 0000000044B4: D1CB0045 05160D0D
	v_fma_f32 v70, v14, v6, v70                                // 0000000044BC: D1CB0046 051A0D0E
	v_fma_f32 v71, v15, v6, v71                                // 0000000044C4: D1CB0047 051E0D0F
	buffer_load_dwordx4 a[64:67], v38, s[84:87], 0 offen       // 0000000044CC: E05C1000 80954026
	buffer_load_dwordx4 a[68:71], v38, s[84:87], 0 offen offset:1024// 0000000044D4: E05C1400 80954426
	buffer_load_dwordx4 a[72:75], v39, s[84:87], 0 offen       // 0000000044DC: E05C1000 80954827
	buffer_load_dwordx4 a[76:79], v39, s[84:87], 0 offen offset:1024// 0000000044E4: E05C1400 80954C27
	s_add_u32 s84, s83, s84                                    // 0000000044EC: 80545453
	s_addc_u32 s85, 0, s85                                     // 0000000044F0: 82555580
	s_addk_i32 s80, 0x80                                       // 0000000044F4: B7500080
	s_cmp_lt_i32 s80, s81                                      // 0000000044F8: BF045150
	s_cbranch_scc0 label_06C1                                  // 0000000044FC: BF840001
	s_branch label_01B6                                        // 000000004500: BF82FAF5

0000000000004504 <label_06C1>:
	s_cmp_eq_u32 s88, 0                                        // 000000004504: BF068058
	s_cbranch_scc0 label_0950                                  // 000000004508: BF84028D
	s_cmp_eq_u32 s89, 0                                        // 00000000450C: BF068059
	s_cbranch_scc1 label_076A                                  // 000000004510: BF8500A5
	v_mov_b32_e32 v8, v1                                       // 000000004514: 7E100301
	v_mov_b32_e32 v9, v1                                       // 000000004518: 7E120301
	s_mov_b32 s60, s6                                          // 00000000451C: BEBC0006
	s_mov_b32 s61, s6                                          // 000000004520: BEBD0006
	v_pk_mul_f32 v[4:5], v[40:41], v[40:41]                    // 000000004524: D3B14004 18025128
	v_pk_mul_f32 v[6:7], v[42:43], v[42:43]                    // 00000000452C: D3B14006 1802552A
	v_pk_fma_f32 v[4:5], v[4:5], s[78:79], v[8:9]              // 000000004534: D3B04004 1C209D04
	v_pk_fma_f32 v[6:7], v[6:7], s[78:79], v[8:9]              // 00000000453C: D3B04006 1C209D06
	v_pk_mul_f32 v[4:5], v[4:5], v[40:41]                      // 000000004544: D3B14004 18025104
	v_pk_mul_f32 v[6:7], v[6:7], v[42:43]                      // 00000000454C: D3B14006 18025506
	v_pk_mul_f32 v[4:5], v[4:5], s[60:61]                      // 000000004554: D3B14004 18007904
	v_pk_mul_f32 v[6:7], v[6:7], s[60:61]                      // 00000000455C: D3B14006 18007906
	v_exp_f32_e32 v4, v4                                       // 000000004564: 7E084104
	v_exp_f32_e32 v5, v5                                       // 000000004568: 7E0A4105
	v_exp_f32_e32 v6, v6                                       // 00000000456C: 7E0C4106
	v_exp_f32_e32 v7, v7                                       // 000000004570: 7E0E4107
	v_add_f32_e64 v4, v4, 1.0                                  // 000000004574: D1010004 0001E504
	v_add_f32_e64 v5, v5, 1.0                                  // 00000000457C: D1010005 0001E505
	v_add_f32_e64 v6, v6, 1.0                                  // 000000004584: D1010006 0001E506
	v_add_f32_e64 v7, v7, 1.0                                  // 00000000458C: D1010007 0001E507
	v_rcp_f32_e32 v4, v4                                       // 000000004594: 7E084504
	v_rcp_f32_e32 v5, v5                                       // 000000004598: 7E0A4505
	v_rcp_f32_e32 v6, v6                                       // 00000000459C: 7E0C4506
	v_rcp_f32_e32 v7, v7                                       // 0000000045A0: 7E0E4507
	v_mul_f32_e32 v40, v40, v4                                 // 0000000045A4: 0A500928
	v_mul_f32_e32 v41, v41, v5                                 // 0000000045A8: 0A520B29
	v_mul_f32_e32 v42, v42, v6                                 // 0000000045AC: 0A540D2A
	v_mul_f32_e32 v43, v43, v7                                 // 0000000045B0: 0A560F2B
	v_mul_f32_e32 v40, v40, v56                                // 0000000045B4: 0A507128
	v_mul_f32_e32 v41, v41, v57                                // 0000000045B8: 0A527329
	v_mul_f32_e32 v42, v42, v58                                // 0000000045BC: 0A54752A
	v_mul_f32_e32 v43, v43, v59                                // 0000000045C0: 0A56772B
	v_pk_mul_f32 v[4:5], v[44:45], v[44:45]                    // 0000000045C4: D3B14004 1802592C
	v_pk_mul_f32 v[6:7], v[46:47], v[46:47]                    // 0000000045CC: D3B14006 18025D2E
	v_pk_fma_f32 v[4:5], v[4:5], s[78:79], v[8:9]              // 0000000045D4: D3B04004 1C209D04
	v_pk_fma_f32 v[6:7], v[6:7], s[78:79], v[8:9]              // 0000000045DC: D3B04006 1C209D06
	v_pk_mul_f32 v[4:5], v[4:5], v[44:45]                      // 0000000045E4: D3B14004 18025904
	v_pk_mul_f32 v[6:7], v[6:7], v[46:47]                      // 0000000045EC: D3B14006 18025D06
	v_pk_mul_f32 v[4:5], v[4:5], s[60:61]                      // 0000000045F4: D3B14004 18007904
	v_pk_mul_f32 v[6:7], v[6:7], s[60:61]                      // 0000000045FC: D3B14006 18007906
	v_exp_f32_e32 v4, v4                                       // 000000004604: 7E084104
	v_exp_f32_e32 v5, v5                                       // 000000004608: 7E0A4105
	v_exp_f32_e32 v6, v6                                       // 00000000460C: 7E0C4106
	v_exp_f32_e32 v7, v7                                       // 000000004610: 7E0E4107
	v_add_f32_e64 v4, v4, 1.0                                  // 000000004614: D1010004 0001E504
	v_add_f32_e64 v5, v5, 1.0                                  // 00000000461C: D1010005 0001E505
	v_add_f32_e64 v6, v6, 1.0                                  // 000000004624: D1010006 0001E506
	v_add_f32_e64 v7, v7, 1.0                                  // 00000000462C: D1010007 0001E507
	v_rcp_f32_e32 v4, v4                                       // 000000004634: 7E084504
	v_rcp_f32_e32 v5, v5                                       // 000000004638: 7E0A4505
	v_rcp_f32_e32 v6, v6                                       // 00000000463C: 7E0C4506
	v_rcp_f32_e32 v7, v7                                       // 000000004640: 7E0E4507
	v_mul_f32_e32 v44, v44, v4                                 // 000000004644: 0A58092C
	v_mul_f32_e32 v45, v45, v5                                 // 000000004648: 0A5A0B2D
	v_mul_f32_e32 v46, v46, v6                                 // 00000000464C: 0A5C0D2E
	v_mul_f32_e32 v47, v47, v7                                 // 000000004650: 0A5E0F2F
	v_mul_f32_e32 v44, v44, v60                                // 000000004654: 0A58792C
	v_mul_f32_e32 v45, v45, v61                                // 000000004658: 0A5A7B2D
	v_mul_f32_e32 v46, v46, v62                                // 00000000465C: 0A5C7D2E
	v_mul_f32_e32 v47, v47, v63                                // 000000004660: 0A5E7F2F
	v_pk_mul_f32 v[4:5], v[48:49], v[48:49]                    // 000000004664: D3B14004 18026130
	v_pk_mul_f32 v[6:7], v[50:51], v[50:51]                    // 00000000466C: D3B14006 18026532
	v_pk_fma_f32 v[4:5], v[4:5], s[78:79], v[8:9]              // 000000004674: D3B04004 1C209D04
	v_pk_fma_f32 v[6:7], v[6:7], s[78:79], v[8:9]              // 00000000467C: D3B04006 1C209D06
	v_pk_mul_f32 v[4:5], v[4:5], v[48:49]                      // 000000004684: D3B14004 18026104
	v_pk_mul_f32 v[6:7], v[6:7], v[50:51]                      // 00000000468C: D3B14006 18026506
	v_pk_mul_f32 v[4:5], v[4:5], s[60:61]                      // 000000004694: D3B14004 18007904
	v_pk_mul_f32 v[6:7], v[6:7], s[60:61]                      // 00000000469C: D3B14006 18007906
	v_exp_f32_e32 v4, v4                                       // 0000000046A4: 7E084104
	v_exp_f32_e32 v5, v5                                       // 0000000046A8: 7E0A4105
	v_exp_f32_e32 v6, v6                                       // 0000000046AC: 7E0C4106
	v_exp_f32_e32 v7, v7                                       // 0000000046B0: 7E0E4107
	v_add_f32_e64 v4, v4, 1.0                                  // 0000000046B4: D1010004 0001E504
	v_add_f32_e64 v5, v5, 1.0                                  // 0000000046BC: D1010005 0001E505
	v_add_f32_e64 v6, v6, 1.0                                  // 0000000046C4: D1010006 0001E506
	v_add_f32_e64 v7, v7, 1.0                                  // 0000000046CC: D1010007 0001E507
	v_rcp_f32_e32 v4, v4                                       // 0000000046D4: 7E084504
	v_rcp_f32_e32 v5, v5                                       // 0000000046D8: 7E0A4505
	v_rcp_f32_e32 v6, v6                                       // 0000000046DC: 7E0C4506
	v_rcp_f32_e32 v7, v7                                       // 0000000046E0: 7E0E4507
	v_mul_f32_e32 v48, v48, v4                                 // 0000000046E4: 0A600930
	v_mul_f32_e32 v49, v49, v5                                 // 0000000046E8: 0A620B31
	v_mul_f32_e32 v50, v50, v6                                 // 0000000046EC: 0A640D32
	v_mul_f32_e32 v51, v51, v7                                 // 0000000046F0: 0A660F33
	v_mul_f32_e32 v48, v48, v64                                // 0000000046F4: 0A608130
	v_mul_f32_e32 v49, v49, v65                                // 0000000046F8: 0A628331
	v_mul_f32_e32 v50, v50, v66                                // 0000000046FC: 0A648532
	v_mul_f32_e32 v51, v51, v67                                // 000000004700: 0A668733
	v_pk_mul_f32 v[4:5], v[52:53], v[52:53]                    // 000000004704: D3B14004 18026934
	v_pk_mul_f32 v[6:7], v[54:55], v[54:55]                    // 00000000470C: D3B14006 18026D36
	v_pk_fma_f32 v[4:5], v[4:5], s[78:79], v[8:9]              // 000000004714: D3B04004 1C209D04
	v_pk_fma_f32 v[6:7], v[6:7], s[78:79], v[8:9]              // 00000000471C: D3B04006 1C209D06
	v_pk_mul_f32 v[4:5], v[4:5], v[52:53]                      // 000000004724: D3B14004 18026904
	v_pk_mul_f32 v[6:7], v[6:7], v[54:55]                      // 00000000472C: D3B14006 18026D06
	v_pk_mul_f32 v[4:5], v[4:5], s[60:61]                      // 000000004734: D3B14004 18007904
	v_pk_mul_f32 v[6:7], v[6:7], s[60:61]                      // 00000000473C: D3B14006 18007906
	v_exp_f32_e32 v4, v4                                       // 000000004744: 7E084104
	v_exp_f32_e32 v5, v5                                       // 000000004748: 7E0A4105
	v_exp_f32_e32 v6, v6                                       // 00000000474C: 7E0C4106
	v_exp_f32_e32 v7, v7                                       // 000000004750: 7E0E4107
	v_add_f32_e64 v4, v4, 1.0                                  // 000000004754: D1010004 0001E504
	v_add_f32_e64 v5, v5, 1.0                                  // 00000000475C: D1010005 0001E505
	v_add_f32_e64 v6, v6, 1.0                                  // 000000004764: D1010006 0001E506
	v_add_f32_e64 v7, v7, 1.0                                  // 00000000476C: D1010007 0001E507
	v_rcp_f32_e32 v4, v4                                       // 000000004774: 7E084504
	v_rcp_f32_e32 v5, v5                                       // 000000004778: 7E0A4505
	v_rcp_f32_e32 v6, v6                                       // 00000000477C: 7E0C4506
	v_rcp_f32_e32 v7, v7                                       // 000000004780: 7E0E4507
	v_mul_f32_e32 v52, v52, v4                                 // 000000004784: 0A680934
	v_mul_f32_e32 v53, v53, v5                                 // 000000004788: 0A6A0B35
	v_mul_f32_e32 v54, v54, v6                                 // 00000000478C: 0A6C0D36
	v_mul_f32_e32 v55, v55, v7                                 // 000000004790: 0A6E0F37
	v_mul_f32_e32 v52, v52, v68                                // 000000004794: 0A688934
	v_mul_f32_e32 v53, v53, v69                                // 000000004798: 0A6A8B35
	v_mul_f32_e32 v54, v54, v70                                // 00000000479C: 0A6C8D36
	v_mul_f32_e32 v55, v55, v71                                // 0000000047A0: 0A6E8F37
	s_branch label_07EA                                        // 0000000047A4: BF820080

00000000000047a8 <label_076A>:
	v_mul_f32_e64 v4, -v40, s6                                 // 0000000047A8: D1050004 20000D28
	v_mul_f32_e64 v5, -v41, s6                                 // 0000000047B0: D1050005 20000D29
	v_mul_f32_e64 v6, -v42, s6                                 // 0000000047B8: D1050006 20000D2A
	v_mul_f32_e64 v7, -v43, s6                                 // 0000000047C0: D1050007 20000D2B
	v_exp_f32_e32 v4, v4                                       // 0000000047C8: 7E084104
	v_exp_f32_e32 v5, v5                                       // 0000000047CC: 7E0A4105
	v_exp_f32_e32 v6, v6                                       // 0000000047D0: 7E0C4106
	v_exp_f32_e32 v7, v7                                       // 0000000047D4: 7E0E4107
	v_add_f32_e64 v4, v4, 1.0                                  // 0000000047D8: D1010004 0001E504
	v_add_f32_e64 v5, v5, 1.0                                  // 0000000047E0: D1010005 0001E505
	v_add_f32_e64 v6, v6, 1.0                                  // 0000000047E8: D1010006 0001E506
	v_add_f32_e64 v7, v7, 1.0                                  // 0000000047F0: D1010007 0001E507
	v_rcp_f32_e32 v4, v4                                       // 0000000047F8: 7E084504
	v_rcp_f32_e32 v5, v5                                       // 0000000047FC: 7E0A4505
	v_rcp_f32_e32 v6, v6                                       // 000000004800: 7E0C4506
	v_rcp_f32_e32 v7, v7                                       // 000000004804: 7E0E4507
	v_mul_f32_e32 v40, v40, v4                                 // 000000004808: 0A500928
	v_mul_f32_e32 v41, v41, v5                                 // 00000000480C: 0A520B29
	v_mul_f32_e32 v42, v42, v6                                 // 000000004810: 0A540D2A
	v_mul_f32_e32 v43, v43, v7                                 // 000000004814: 0A560F2B
	v_mul_f32_e32 v40, v40, v56                                // 000000004818: 0A507128
	v_mul_f32_e32 v41, v41, v57                                // 00000000481C: 0A527329
	v_mul_f32_e32 v42, v42, v58                                // 000000004820: 0A54752A
	v_mul_f32_e32 v43, v43, v59                                // 000000004824: 0A56772B
	v_mul_f32_e64 v4, -v44, s6                                 // 000000004828: D1050004 20000D2C
	v_mul_f32_e64 v5, -v45, s6                                 // 000000004830: D1050005 20000D2D
	v_mul_f32_e64 v6, -v46, s6                                 // 000000004838: D1050006 20000D2E
	v_mul_f32_e64 v7, -v47, s6                                 // 000000004840: D1050007 20000D2F
	v_exp_f32_e32 v4, v4                                       // 000000004848: 7E084104
	v_exp_f32_e32 v5, v5                                       // 00000000484C: 7E0A4105
	v_exp_f32_e32 v6, v6                                       // 000000004850: 7E0C4106
	v_exp_f32_e32 v7, v7                                       // 000000004854: 7E0E4107
	v_add_f32_e64 v4, v4, 1.0                                  // 000000004858: D1010004 0001E504
	v_add_f32_e64 v5, v5, 1.0                                  // 000000004860: D1010005 0001E505
	v_add_f32_e64 v6, v6, 1.0                                  // 000000004868: D1010006 0001E506
	v_add_f32_e64 v7, v7, 1.0                                  // 000000004870: D1010007 0001E507
	v_rcp_f32_e32 v4, v4                                       // 000000004878: 7E084504
	v_rcp_f32_e32 v5, v5                                       // 00000000487C: 7E0A4505
	v_rcp_f32_e32 v6, v6                                       // 000000004880: 7E0C4506
	v_rcp_f32_e32 v7, v7                                       // 000000004884: 7E0E4507
	v_mul_f32_e32 v44, v44, v4                                 // 000000004888: 0A58092C
	v_mul_f32_e32 v45, v45, v5                                 // 00000000488C: 0A5A0B2D
	v_mul_f32_e32 v46, v46, v6                                 // 000000004890: 0A5C0D2E
	v_mul_f32_e32 v47, v47, v7                                 // 000000004894: 0A5E0F2F
	v_mul_f32_e32 v44, v44, v60                                // 000000004898: 0A58792C
	v_mul_f32_e32 v45, v45, v61                                // 00000000489C: 0A5A7B2D
	v_mul_f32_e32 v46, v46, v62                                // 0000000048A0: 0A5C7D2E
	v_mul_f32_e32 v47, v47, v63                                // 0000000048A4: 0A5E7F2F
	v_mul_f32_e64 v4, -v48, s6                                 // 0000000048A8: D1050004 20000D30
	v_mul_f32_e64 v5, -v49, s6                                 // 0000000048B0: D1050005 20000D31
	v_mul_f32_e64 v6, -v50, s6                                 // 0000000048B8: D1050006 20000D32
	v_mul_f32_e64 v7, -v51, s6                                 // 0000000048C0: D1050007 20000D33
	v_exp_f32_e32 v4, v4                                       // 0000000048C8: 7E084104
	v_exp_f32_e32 v5, v5                                       // 0000000048CC: 7E0A4105
	v_exp_f32_e32 v6, v6                                       // 0000000048D0: 7E0C4106
	v_exp_f32_e32 v7, v7                                       // 0000000048D4: 7E0E4107
	v_add_f32_e64 v4, v4, 1.0                                  // 0000000048D8: D1010004 0001E504
	v_add_f32_e64 v5, v5, 1.0                                  // 0000000048E0: D1010005 0001E505
	v_add_f32_e64 v6, v6, 1.0                                  // 0000000048E8: D1010006 0001E506
	v_add_f32_e64 v7, v7, 1.0                                  // 0000000048F0: D1010007 0001E507
	v_rcp_f32_e32 v4, v4                                       // 0000000048F8: 7E084504
	v_rcp_f32_e32 v5, v5                                       // 0000000048FC: 7E0A4505
	v_rcp_f32_e32 v6, v6                                       // 000000004900: 7E0C4506
	v_rcp_f32_e32 v7, v7                                       // 000000004904: 7E0E4507
	v_mul_f32_e32 v48, v48, v4                                 // 000000004908: 0A600930
	v_mul_f32_e32 v49, v49, v5                                 // 00000000490C: 0A620B31
	v_mul_f32_e32 v50, v50, v6                                 // 000000004910: 0A640D32
	v_mul_f32_e32 v51, v51, v7                                 // 000000004914: 0A660F33
	v_mul_f32_e32 v48, v48, v64                                // 000000004918: 0A608130
	v_mul_f32_e32 v49, v49, v65                                // 00000000491C: 0A628331
	v_mul_f32_e32 v50, v50, v66                                // 000000004920: 0A648532
	v_mul_f32_e32 v51, v51, v67                                // 000000004924: 0A668733
	v_mul_f32_e64 v4, -v52, s6                                 // 000000004928: D1050004 20000D34
	v_mul_f32_e64 v5, -v53, s6                                 // 000000004930: D1050005 20000D35
	v_mul_f32_e64 v6, -v54, s6                                 // 000000004938: D1050006 20000D36
	v_mul_f32_e64 v7, -v55, s6                                 // 000000004940: D1050007 20000D37
	v_exp_f32_e32 v4, v4                                       // 000000004948: 7E084104
	v_exp_f32_e32 v5, v5                                       // 00000000494C: 7E0A4105
	v_exp_f32_e32 v6, v6                                       // 000000004950: 7E0C4106
	v_exp_f32_e32 v7, v7                                       // 000000004954: 7E0E4107
	v_add_f32_e64 v4, v4, 1.0                                  // 000000004958: D1010004 0001E504
	v_add_f32_e64 v5, v5, 1.0                                  // 000000004960: D1010005 0001E505
	v_add_f32_e64 v6, v6, 1.0                                  // 000000004968: D1010006 0001E506
	v_add_f32_e64 v7, v7, 1.0                                  // 000000004970: D1010007 0001E507
	v_rcp_f32_e32 v4, v4                                       // 000000004978: 7E084504
	v_rcp_f32_e32 v5, v5                                       // 00000000497C: 7E0A4505
	v_rcp_f32_e32 v6, v6                                       // 000000004980: 7E0C4506
	v_rcp_f32_e32 v7, v7                                       // 000000004984: 7E0E4507
	v_mul_f32_e32 v52, v52, v4                                 // 000000004988: 0A680934
	v_mul_f32_e32 v53, v53, v5                                 // 00000000498C: 0A6A0B35
	v_mul_f32_e32 v54, v54, v6                                 // 000000004990: 0A6C0D36
	v_mul_f32_e32 v55, v55, v7                                 // 000000004994: 0A6E0F37
	v_mul_f32_e32 v52, v52, v68                                // 000000004998: 0A688934
	v_mul_f32_e32 v53, v53, v69                                // 00000000499C: 0A6A8B35
	v_mul_f32_e32 v54, v54, v70                                // 0000000049A0: 0A6C8D36
	v_mul_f32_e32 v55, v55, v71                                // 0000000049A4: 0A6E8F37

00000000000049a8 <label_07EA>:
	s_cmp_eq_u32 s7, 0                                         // 0000000049A8: BF068007
	s_cbranch_scc0 label_07F1                                  // 0000000049AC: BF840005
	v_and_b32_e32 v4, 15, v0                                   // 0000000049B0: 2608008F
	v_lshlrev_b32_e32 v4, 2, v4                                // 0000000049B4: 24080882
	buffer_load_dword v30, v4, s[12:15], 0 offen               // 0000000049B8: E0501000 80031E04
	v_add_u32_e32 v4, 64, v4                                   // 0000000049C0: 680808C0

00000000000049c4 <label_07F1>:
	v_lshlrev_b32_e32 v4, 2, v0                                // 0000000049C4: 24080082
	s_mul_i32 s60, 0x100, s7                                   // 0000000049C8: 923C07FF 00000100
	v_add_u32_e32 v58, s60, v4                                 // 0000000049D0: 6874083C
	v_and_b32_e32 v4, 15, v0                                   // 0000000049D4: 2608008F
	v_lshlrev_b32_e32 v59, 2, v4                               // 0000000049D8: 24760882
	s_waitcnt lgkmcnt(0)                                       // 0000000049DC: BF8CC07F
	s_barrier                                                  // 0000000049E0: BF8A0000
	v_mov_b32_e32 v56, 0x358637bd                              // 0000000049E4: 7E7002FF 358637BD
	v_max3_f32 v56, |v40|, |v41|, v56                          // 0000000049EC: D1D30338 04E25328
	v_max3_f32 v56, |v42|, |v43|, v56                          // 0000000049F4: D1D30338 04E2572A
	v_max3_f32 v56, |v44|, |v45|, v56                          // 0000000049FC: D1D30338 04E25B2C
	v_max3_f32 v56, |v46|, |v47|, v56                          // 000000004A04: D1D30338 04E25F2E
	ds_write_b32 v58, v56                                      // 000000004A0C: D81A0000 0000383A
	s_waitcnt lgkmcnt(0)                                       // 000000004A14: BF8CC07F
	s_barrier                                                  // 000000004A18: BF8A0000
	ds_read_b32 v4, v59                                        // 000000004A1C: D86C0000 0400003B
	ds_read_b32 v5, v59 offset:64                              // 000000004A24: D86C0040 0500003B
	ds_read_b32 v6, v59 offset:128                             // 000000004A2C: D86C0080 0600003B
	ds_read_b32 v7, v59 offset:192                             // 000000004A34: D86C00C0 0700003B
	ds_read_b32 v8, v59 offset:256                             // 000000004A3C: D86C0100 0800003B
	ds_read_b32 v9, v59 offset:320                             // 000000004A44: D86C0140 0900003B
	ds_read_b32 v10, v59 offset:384                            // 000000004A4C: D86C0180 0A00003B
	ds_read_b32 v11, v59 offset:448                            // 000000004A54: D86C01C0 0B00003B
	ds_read_b32 v12, v59 offset:512                            // 000000004A5C: D86C0200 0C00003B
	ds_read_b32 v13, v59 offset:576                            // 000000004A64: D86C0240 0D00003B
	ds_read_b32 v14, v59 offset:640                            // 000000004A6C: D86C0280 0E00003B
	ds_read_b32 v15, v59 offset:704                            // 000000004A74: D86C02C0 0F00003B
	ds_read_b32 v16, v59 offset:768                            // 000000004A7C: D86C0300 1000003B
	ds_read_b32 v17, v59 offset:832                            // 000000004A84: D86C0340 1100003B
	ds_read_b32 v18, v59 offset:896                            // 000000004A8C: D86C0380 1200003B
	ds_read_b32 v19, v59 offset:960                            // 000000004A94: D86C03C0 1300003B
	s_waitcnt lgkmcnt(0)                                       // 000000004A9C: BF8CC07F
	s_barrier                                                  // 000000004AA0: BF8A0000
	v_max3_f32 v56, |v4|, |v5|, v56                            // 000000004AA4: D1D30338 04E20B04
	v_max3_f32 v56, |v6|, |v7|, v56                            // 000000004AAC: D1D30338 04E20F06
	v_max3_f32 v56, |v8|, |v9|, v56                            // 000000004AB4: D1D30338 04E21308
	v_max3_f32 v56, |v10|, |v11|, v56                          // 000000004ABC: D1D30338 04E2170A
	v_max3_f32 v56, |v12|, |v13|, v56                          // 000000004AC4: D1D30338 04E21B0C
	v_max3_f32 v56, |v14|, |v15|, v56                          // 000000004ACC: D1D30338 04E21F0E
	v_max3_f32 v56, |v16|, |v17|, v56                          // 000000004AD4: D1D30338 04E22310
	v_max3_f32 v56, |v18|, |v19|, v56                          // 000000004ADC: D1D30338 04E22712
	v_rcp_f32_e32 v56, v56                                     // 000000004AE4: 7E704538
	v_mov_b32_e32 v4, 0x43700000                               // 000000004AE8: 7E0802FF 43700000
	v_mul_f32_e32 v56, v4, v56                                 // 000000004AF0: 0A707104
	v_mov_b32_e32 v4, v56                                      // 000000004AF4: 7E080338
	v_mov_b32_e32 v5, v4                                       // 000000004AF8: 7E0A0304
	v_pk_mul_f32 v[40:41], v[4:5], v[40:41]                    // 000000004AFC: D3B14028 18025104
	v_pk_mul_f32 v[42:43], v[4:5], v[42:43]                    // 000000004B04: D3B1402A 18025504
	v_cvt_pk_fp8_f32 v40, v40, v41                             // 000000004B0C: D2A20028 00025328
	v_cvt_pk_fp8_f32 v40, v42, v43 op_sel:[0,0,1]              // 000000004B14: D2A24028 0002572A
	v_pk_mul_f32 v[44:45], v[4:5], v[44:45]                    // 000000004B1C: D3B1402C 18025904
	v_pk_mul_f32 v[46:47], v[4:5], v[46:47]                    // 000000004B24: D3B1402E 18025D04
	v_cvt_pk_fp8_f32 v44, v44, v45                             // 000000004B2C: D2A2002C 00025B2C
	v_cvt_pk_fp8_f32 v44, v46, v47 op_sel:[0,0,1]              // 000000004B34: D2A2402C 00025F2E
	v_rcp_f32_e32 v56, v56                                     // 000000004B3C: 7E704538
	v_mov_b32_e32 v57, 0x358637bd                              // 000000004B40: 7E7202FF 358637BD
	v_max3_f32 v57, |v48|, |v49|, v57                          // 000000004B48: D1D30339 04E66330
	v_max3_f32 v57, |v50|, |v51|, v57                          // 000000004B50: D1D30339 04E66732
	v_max3_f32 v57, |v52|, |v53|, v57                          // 000000004B58: D1D30339 04E66B34
	v_max3_f32 v57, |v54|, |v55|, v57                          // 000000004B60: D1D30339 04E66F36
	ds_write_b32 v58, v57                                      // 000000004B68: D81A0000 0000393A
	s_waitcnt lgkmcnt(0)                                       // 000000004B70: BF8CC07F
	s_barrier                                                  // 000000004B74: BF8A0000
	ds_read_b32 v4, v59                                        // 000000004B78: D86C0000 0400003B
	ds_read_b32 v5, v59 offset:64                              // 000000004B80: D86C0040 0500003B
	ds_read_b32 v6, v59 offset:128                             // 000000004B88: D86C0080 0600003B
	ds_read_b32 v7, v59 offset:192                             // 000000004B90: D86C00C0 0700003B
	ds_read_b32 v8, v59 offset:256                             // 000000004B98: D86C0100 0800003B
	ds_read_b32 v9, v59 offset:320                             // 000000004BA0: D86C0140 0900003B
	ds_read_b32 v10, v59 offset:384                            // 000000004BA8: D86C0180 0A00003B
	ds_read_b32 v11, v59 offset:448                            // 000000004BB0: D86C01C0 0B00003B
	ds_read_b32 v12, v59 offset:512                            // 000000004BB8: D86C0200 0C00003B
	ds_read_b32 v13, v59 offset:576                            // 000000004BC0: D86C0240 0D00003B
	ds_read_b32 v14, v59 offset:640                            // 000000004BC8: D86C0280 0E00003B
	ds_read_b32 v15, v59 offset:704                            // 000000004BD0: D86C02C0 0F00003B
	ds_read_b32 v16, v59 offset:768                            // 000000004BD8: D86C0300 1000003B
	ds_read_b32 v17, v59 offset:832                            // 000000004BE0: D86C0340 1100003B
	ds_read_b32 v18, v59 offset:896                            // 000000004BE8: D86C0380 1200003B
	ds_read_b32 v19, v59 offset:960                            // 000000004BF0: D86C03C0 1300003B
	s_waitcnt lgkmcnt(0)                                       // 000000004BF8: BF8CC07F
	s_barrier                                                  // 000000004BFC: BF8A0000
	v_max3_f32 v57, |v4|, |v5|, v57                            // 000000004C00: D1D30339 04E60B04
	v_max3_f32 v57, |v6|, |v7|, v57                            // 000000004C08: D1D30339 04E60F06
	v_max3_f32 v57, |v8|, |v9|, v57                            // 000000004C10: D1D30339 04E61308
	v_max3_f32 v57, |v10|, |v11|, v57                          // 000000004C18: D1D30339 04E6170A
	v_max3_f32 v57, |v12|, |v13|, v57                          // 000000004C20: D1D30339 04E61B0C
	v_max3_f32 v57, |v14|, |v15|, v57                          // 000000004C28: D1D30339 04E61F0E
	v_max3_f32 v57, |v16|, |v17|, v57                          // 000000004C30: D1D30339 04E62310
	v_max3_f32 v57, |v18|, |v19|, v57                          // 000000004C38: D1D30339 04E62712
	v_rcp_f32_e32 v57, v57                                     // 000000004C40: 7E724539
	v_mov_b32_e32 v4, 0x43700000                               // 000000004C44: 7E0802FF 43700000
	v_mul_f32_e32 v57, v4, v57                                 // 000000004C4C: 0A727304
	v_mov_b32_e32 v4, v57                                      // 000000004C50: 7E080339
	v_mov_b32_e32 v5, v4                                       // 000000004C54: 7E0A0304
	v_pk_mul_f32 v[48:49], v[4:5], v[48:49]                    // 000000004C58: D3B14030 18026104
	v_pk_mul_f32 v[50:51], v[4:5], v[50:51]                    // 000000004C60: D3B14032 18026504
	v_cvt_pk_fp8_f32 v48, v48, v49                             // 000000004C68: D2A20030 00026330
	v_cvt_pk_fp8_f32 v48, v50, v51 op_sel:[0,0,1]              // 000000004C70: D2A24030 00026732
	v_pk_mul_f32 v[52:53], v[4:5], v[52:53]                    // 000000004C78: D3B14034 18026904
	v_pk_mul_f32 v[54:55], v[4:5], v[54:55]                    // 000000004C80: D3B14036 18026D04
	v_cvt_pk_fp8_f32 v52, v52, v53                             // 000000004C88: D2A20034 00026B34
	v_cvt_pk_fp8_f32 v52, v54, v55 op_sel:[0,0,1]              // 000000004C90: D2A24034 00026F36
	v_rcp_f32_e32 v57, v57                                     // 000000004C98: 7E724539
	v_lshrrev_b32_e32 v4, 5, v0                                // 000000004C9C: 20080085
	v_mul_lo_u32 v20, 34, v4                                   // 000000004CA0: D2850014 000208A2
	v_and_b32_e32 v4, 31, v0                                   // 000000004CA8: 2608009F
	v_lshrrev_b32_e32 v5, 4, v4                                // 000000004CAC: 200A0884
	v_add_u32_e32 v20, v5, v20                                 // 000000004CB0: 68282905
	v_and_b32_e32 v4, 15, v0                                   // 000000004CB4: 2608008F
	v_mul_lo_u32 v5, 2, v4                                     // 000000004CB8: D2850005 00020882
	v_add_u32_e32 v20, v5, v20                                 // 000000004CC0: 68282905
	s_mul_i32 s60, s7, 0x44                                    // 000000004CC4: 923CFF07 00000044
	v_add_u32_e32 v20, s60, v20                                // 000000004CCC: 6828283C
	v_lshlrev_b32_e32 v20, 2, v20                              // 000000004CD0: 24282882
	ds_write_b32 v20, v40                                      // 000000004CD4: D81A0000 00002814
	ds_write_b32 v20, v44 offset:1088                          // 000000004CDC: D81A0440 00002C14
	ds_write_b32 v20, v48 offset:2176                          // 000000004CE4: D81A0880 00003014
	ds_write_b32 v20, v52 offset:3264                          // 000000004CEC: D81A0CC0 00003414
	v_lshrrev_b32_e32 v4, 5, v0                                // 000000004CF4: 20080085
	v_xor_b32_e32 v5, 1, v4                                    // 000000004CF8: 2A0A0881
	s_mul_i32 s60, s65, 1                                      // 000000004CFC: 923C8141
	s_cmp_eq_u32 s88, 0                                        // 000000004D00: BF068058
	s_cselect_b32 s61, 1, 8                                    // 000000004D04: 853D8881
	s_mul_i32 s60, s61, s60                                    // 000000004D08: 923C3C3D
	v_readlane_b32 s82, v3, 0                                  // 000000004D0C: D2890052 00010103
	s_lshr_b32 s61, s82, 24                                    // 000000004D14: 8F3D9852
	s_and_b32 s82, s82, 0xffffff                               // 000000004D18: 8652FF52 00FFFFFF
	s_mul_i32 s82, s82, s71                                    // 000000004D20: 92524752
	s_mul_i32 s61, s60, s61                                    // 000000004D24: 923D3D3C
	s_add_u32 s82, s82, s61                                    // 000000004D28: 80523D52
	v_mul_lo_u32 v6, v5, s82                                   // 000000004D2C: D2850006 0000A505
	v_readlane_b32 s82, v3, 1                                  // 000000004D34: D2890052 00010303
	s_lshr_b32 s61, s82, 24                                    // 000000004D3C: 8F3D9852
	s_and_b32 s82, s82, 0xffffff                               // 000000004D40: 8652FF52 00FFFFFF
	s_mul_i32 s82, s82, s71                                    // 000000004D48: 92524752
	s_mul_i32 s61, s60, s61                                    // 000000004D4C: 923D3D3C
	s_add_u32 s82, s82, s61                                    // 000000004D50: 80523D52
	v_mul_lo_u32 v7, v4, s82                                   // 000000004D54: D2850007 0000A504
	v_add_u32_e32 v34, v6, v7                                  // 000000004D5C: 68440F06
	v_readlane_b32 s82, v3, 2                                  // 000000004D60: D2890052 00010503
	s_lshr_b32 s61, s82, 24                                    // 000000004D68: 8F3D9852
	s_and_b32 s82, s82, 0xffffff                               // 000000004D6C: 8652FF52 00FFFFFF
	s_mul_i32 s82, s82, s71                                    // 000000004D74: 92524752
	s_mul_i32 s61, s60, s61                                    // 000000004D78: 923D3D3C
	s_add_u32 s82, s82, s61                                    // 000000004D7C: 80523D52
	v_mul_lo_u32 v6, v5, s82                                   // 000000004D80: D2850006 0000A505
	v_readlane_b32 s82, v3, 3                                  // 000000004D88: D2890052 00010703
	s_lshr_b32 s61, s82, 24                                    // 000000004D90: 8F3D9852
	s_and_b32 s82, s82, 0xffffff                               // 000000004D94: 8652FF52 00FFFFFF
	s_mul_i32 s82, s82, s71                                    // 000000004D9C: 92524752
	s_mul_i32 s61, s60, s61                                    // 000000004DA0: 923D3D3C
	s_add_u32 s82, s82, s61                                    // 000000004DA4: 80523D52
	v_mul_lo_u32 v7, v4, s82                                   // 000000004DA8: D2850007 0000A504
	v_add_u32_e32 v35, v6, v7                                  // 000000004DB0: 68460F06
	v_and_b32_e32 v4, 31, v0                                   // 000000004DB4: 2608009F
	v_lshrrev_b32_e32 v4, 1, v4                                // 000000004DB8: 20080881
	s_cmp_eq_u32 s88, 0                                        // 000000004DBC: BF068058
	s_cselect_b32 s61, 2, 4                                    // 000000004DC0: 853D8482
	v_mul_lo_u32 v4, v4, s61                                   // 000000004DC4: D2850004 00007B04
	v_and_b32_e64 v5, v0, 1                                    // 000000004DCC: D1130005 00010300
	v_add_u32_e32 v4, v4, v5                                   // 000000004DD4: 68080B04
	v_lshlrev_b32_e32 v4, 2, v4                                // 000000004DD8: 24080882
	v_add_u32_e32 v34, v34, v4                                 // 000000004DDC: 68440922
	v_add_u32_e32 v35, v35, v4                                 // 000000004DE0: 68460923
	s_waitcnt lgkmcnt(0)                                       // 000000004DE4: BF8CC07F
	s_barrier                                                  // 000000004DE8: BF8A0000
	ds_read_b32 v40, v21                                       // 000000004DEC: D86C0000 28000015
	ds_read_b32 v41, v21 offset:64                             // 000000004DF4: D86C0040 29000015
	ds_read_b32 v42, v21 offset:2176                           // 000000004DFC: D86C0880 2A000015
	ds_read_b32 v43, v21 offset:2240                           // 000000004E04: D86C08C0 2B000015
	s_waitcnt lgkmcnt(0)                                       // 000000004E0C: BF8CC07F
	s_mov_b32 s36, -1                                          // 000000004E10: BEA400C1
	s_mov_b32 s37, -1                                          // 000000004E14: BEA500C1
	v_mov_b32_e32 v7, 0                                        // 000000004E18: 7E0E0280
	s_or_b32 s9, s9, 0x40000                                   // 000000004E1C: 8709FF09 00040000
	s_mov_b64 exec, s[36:37]                                   // 000000004E24: BEFE0124
	v_mov_b32_e32 v6, v34                                      // 000000004E28: 7E0C0322
	s_mov_b64 s[60:61], 0                                      // 000000004E2C: BEBC0180
	v_readlane_b32 s82, v3, 0                                  // 000000004E30: D2890052 00010103
	s_and_b32 s82, s82, 0xffffff                               // 000000004E38: 8652FF52 00FFFFFF
	s_cmp_lt_u32 s82, s66                                      // 000000004E40: BF0A4252
	s_cselect_b32 s20, s36, s60                                // 000000004E44: 85143C24
	v_readlane_b32 s82, v3, 1                                  // 000000004E48: D2890052 00010303
	s_and_b32 s82, s82, 0xffffff                               // 000000004E50: 8652FF52 00FFFFFF
	s_cmp_lt_u32 s82, s66                                      // 000000004E58: BF0A4252
	s_cselect_b32 s21, s36, s60                                // 000000004E5C: 85153C24
	s_mov_b64 exec, s[20:21]                                   // 000000004E60: BEFE0114
	buffer_store_dword v40, v6, s[8:11], 0 offen               // 000000004E64: E0701000 80022806
	buffer_store_dword v42, v6, s[8:11], 0 offen offset:128    // 000000004E6C: E0701080 80022A06
	s_mov_b64 exec, s[36:37]                                   // 000000004E74: BEFE0124
	v_mov_b32_e32 v6, v35                                      // 000000004E78: 7E0C0323
	s_mov_b64 s[60:61], 0                                      // 000000004E7C: BEBC0180
	v_readlane_b32 s82, v3, 2                                  // 000000004E80: D2890052 00010503
	s_and_b32 s82, s82, 0xffffff                               // 000000004E88: 8652FF52 00FFFFFF
	s_cmp_lt_u32 s82, s66                                      // 000000004E90: BF0A4252
	s_cselect_b32 s20, s36, s60                                // 000000004E94: 85143C24
	v_readlane_b32 s82, v3, 3                                  // 000000004E98: D2890052 00010703
	s_and_b32 s82, s82, 0xffffff                               // 000000004EA0: 8652FF52 00FFFFFF
	s_cmp_lt_u32 s82, s66                                      // 000000004EA8: BF0A4252
	s_cselect_b32 s21, s36, s60                                // 000000004EAC: 85153C24
	s_mov_b64 exec, s[20:21]                                   // 000000004EB0: BEFE0114
	buffer_store_dword v41, v6, s[8:11], 0 offen               // 000000004EB4: E0701000 80022906
	buffer_store_dword v43, v6, s[8:11], 0 offen offset:128    // 000000004EBC: E0701080 80022B06
	s_mov_b64 exec, s[36:37]                                   // 000000004EC4: BEFE0124
	s_cmp_eq_u32 s7, 0                                         // 000000004EC8: BF068007
	s_cbranch_scc0 label_13D9                                  // 000000004ECC: BF840AA2
	s_waitcnt vmcnt(4)                                         // 000000004ED0: BF8C0F74
	s_mov_b32 s8, s90                                          // 000000004ED4: BE88005A
	s_mov_b32 s9, s91                                          // 000000004ED8: BE89005B
	s_mul_i32 s60, s66, s71                                    // 000000004EDC: 923C4742
	s_add_u32 s8, s60, s8                                      // 000000004EE0: 8008083C
	s_addc_u32 s9, 0, s9                                       // 000000004EE4: 82090980
	s_lshr_b32 s71, s71, 5                                     // 000000004EE8: 8F478547
	s_mul_i32 s60, s66, s71                                    // 000000004EEC: 923C4742
	s_mov_b32 s10, s60                                         // 000000004EF0: BE8A003C
	s_lshr_b32 s61, s65, 5                                     // 000000004EF4: 8F3D8541
	s_mul_i32 s60, s2, 8                                       // 000000004EF8: 923C8802
	v_lshrrev_b32_e32 v4, 24, v30                              // 000000004EFC: 20083C98
	v_mul_lo_u32 v4, s61, v4                                   // 000000004F00: D2850004 0002083D
	v_and_b32_e32 v30, 0xffffff, v30                           // 000000004F08: 263C3CFF 00FFFFFF
	v_mul_lo_u32 v30, s71, v30                                 // 000000004F10: D285001E 00023C47
	v_add_u32_e32 v30, v4, v30                                 // 000000004F18: 683C3D04
	v_add_u32_e32 v30, s60, v30                                // 000000004F1C: 683C3C3C
	s_mov_b64 exec, 0xffff                                     // 000000004F20: BEFE01FF 0000FFFF
	buffer_store_dword v56, v30, s[8:11], 0 offen              // 000000004F28: E0701000 8002381E
	buffer_store_dword v57, v30, s[8:11], 0 offen offset:4     // 000000004F30: E0701004 8002391E
	s_mov_b64 exec, s[36:37]                                   // 000000004F38: BEFE0124
	s_branch label_13D9                                        // 000000004F3C: BF820A86

0000000000004f40 <label_0950>:
	ds_write_b64 v20, v[40:41]                                 // 000000004F40: D89A0000 00002814
	ds_write_b64 v20, v[44:45] offset:2176                     // 000000004F48: D89A0880 00002C14
	ds_write_b64 v20, v[48:49] offset:4352                     // 000000004F50: D89A1100 00003014
	ds_write_b64 v20, v[52:53] offset:6528                     // 000000004F58: D89A1980 00003414
	v_lshrrev_b32_e32 v4, 5, v0                                // 000000004F60: 20080085
	v_xor_b32_e32 v5, 1, v4                                    // 000000004F64: 2A0A0881
	s_mul_i32 s60, s65, 1                                      // 000000004F68: 923C8141
	s_cmp_eq_u32 s88, 0                                        // 000000004F6C: BF068058
	s_cselect_b32 s61, 1, 8                                    // 000000004F70: 853D8881
	s_mul_i32 s60, s61, s60                                    // 000000004F74: 923C3C3D
	v_readlane_b32 s82, v3, 0                                  // 000000004F78: D2890052 00010103
	s_lshr_b32 s61, s82, 24                                    // 000000004F80: 8F3D9852
	s_and_b32 s82, s82, 0xffffff                               // 000000004F84: 8652FF52 00FFFFFF
	s_mul_i32 s82, s82, s71                                    // 000000004F8C: 92524752
	s_mul_i32 s61, s60, s61                                    // 000000004F90: 923D3D3C
	s_add_u32 s82, s82, s61                                    // 000000004F94: 80523D52
	v_mul_lo_u32 v6, v5, s82                                   // 000000004F98: D2850006 0000A505
	v_readlane_b32 s82, v3, 1                                  // 000000004FA0: D2890052 00010303
	s_lshr_b32 s61, s82, 24                                    // 000000004FA8: 8F3D9852
	s_and_b32 s82, s82, 0xffffff                               // 000000004FAC: 8652FF52 00FFFFFF
	s_mul_i32 s82, s82, s71                                    // 000000004FB4: 92524752
	s_mul_i32 s61, s60, s61                                    // 000000004FB8: 923D3D3C
	s_add_u32 s82, s82, s61                                    // 000000004FBC: 80523D52
	v_mul_lo_u32 v7, v4, s82                                   // 000000004FC0: D2850007 0000A504
	v_add_u32_e32 v34, v6, v7                                  // 000000004FC8: 68440F06
	v_readlane_b32 s82, v3, 2                                  // 000000004FCC: D2890052 00010503
	s_lshr_b32 s61, s82, 24                                    // 000000004FD4: 8F3D9852
	s_and_b32 s82, s82, 0xffffff                               // 000000004FD8: 8652FF52 00FFFFFF
	s_mul_i32 s82, s82, s71                                    // 000000004FE0: 92524752
	s_mul_i32 s61, s60, s61                                    // 000000004FE4: 923D3D3C
	s_add_u32 s82, s82, s61                                    // 000000004FE8: 80523D52
	v_mul_lo_u32 v6, v5, s82                                   // 000000004FEC: D2850006 0000A505
	v_readlane_b32 s82, v3, 3                                  // 000000004FF4: D2890052 00010703
	s_lshr_b32 s61, s82, 24                                    // 000000004FFC: 8F3D9852
	s_and_b32 s82, s82, 0xffffff                               // 000000005000: 8652FF52 00FFFFFF
	s_mul_i32 s82, s82, s71                                    // 000000005008: 92524752
	s_mul_i32 s61, s60, s61                                    // 00000000500C: 923D3D3C
	s_add_u32 s82, s82, s61                                    // 000000005010: 80523D52
	v_mul_lo_u32 v7, v4, s82                                   // 000000005014: D2850007 0000A504
	v_add_u32_e32 v35, v6, v7                                  // 00000000501C: 68460F06
	v_and_b32_e32 v4, 31, v0                                   // 000000005020: 2608009F
	v_lshrrev_b32_e32 v4, 1, v4                                // 000000005024: 20080881
	s_cmp_eq_u32 s88, 0                                        // 000000005028: BF068058
	s_cselect_b32 s61, 2, 4                                    // 00000000502C: 853D8482
	v_mul_lo_u32 v4, v4, s61                                   // 000000005030: D2850004 00007B04
	v_and_b32_e64 v5, v0, 1                                    // 000000005038: D1130005 00010300
	v_add_u32_e32 v4, v4, v5                                   // 000000005040: 68080B04
	v_lshlrev_b32_e32 v4, 2, v4                                // 000000005044: 24080882
	v_add_u32_e32 v34, v34, v4                                 // 000000005048: 68440922
	v_add_u32_e32 v35, v35, v4                                 // 00000000504C: 68460923
	s_waitcnt lgkmcnt(0)                                       // 000000005050: BF8CC07F
	s_barrier                                                  // 000000005054: BF8A0000
	ds_read_b32 v40, v21                                       // 000000005058: D86C0000 28000015
	ds_read_b32 v41, v21 offset:64                             // 000000005060: D86C0040 29000015
	ds_read_b32 v44, v21 offset:2176                           // 000000005068: D86C0880 2C000015
	ds_read_b32 v45, v21 offset:2240                           // 000000005070: D86C08C0 2D000015
	ds_read_b32 v48, v21 offset:4352                           // 000000005078: D86C1100 30000015
	ds_read_b32 v49, v21 offset:4416                           // 000000005080: D86C1140 31000015
	ds_read_b32 v52, v21 offset:6528                           // 000000005088: D86C1980 34000015
	ds_read_b32 v53, v21 offset:6592                           // 000000005090: D86C19C0 35000015
	s_waitcnt lgkmcnt(0)                                       // 000000005098: BF8CC07F
	s_mov_b32 s36, -1                                          // 00000000509C: BEA400C1
	s_mov_b32 s37, -1                                          // 0000000050A0: BEA500C1
	v_mov_b32_e32 v7, 0                                        // 0000000050A4: 7E0E0280
	s_mov_b64 exec, s[36:37]                                   // 0000000050A8: BEFE0124
	v_mov_b32_e32 v6, v34                                      // 0000000050AC: 7E0C0322
	s_mov_b64 s[60:61], 0                                      // 0000000050B0: BEBC0180
	v_readlane_b32 s82, v3, 0                                  // 0000000050B4: D2890052 00010103
	s_and_b32 s82, s82, 0xffffff                               // 0000000050BC: 8652FF52 00FFFFFF
	s_cmp_lt_u32 s82, s66                                      // 0000000050C4: BF0A4252
	s_cselect_b32 s20, s36, s60                                // 0000000050C8: 85143C24
	v_readlane_b32 s82, v3, 1                                  // 0000000050CC: D2890052 00010303
	s_and_b32 s82, s82, 0xffffff                               // 0000000050D4: 8652FF52 00FFFFFF
	s_cmp_lt_u32 s82, s66                                      // 0000000050DC: BF0A4252
	s_cselect_b32 s21, s36, s60                                // 0000000050E0: 85153C24
	s_mov_b64 exec, s[20:21]                                   // 0000000050E4: BEFE0114
	global_atomic_add_f32 v6, v40, s[8:9]                      // 0000000050E8: DD348000 00082806
	global_atomic_add_f32 v6, v44, s[8:9] offset:256           // 0000000050F0: DD348100 00082C06
	global_atomic_add_f32 v6, v48, s[8:9] offset:512           // 0000000050F8: DD348200 00083006
	global_atomic_add_f32 v6, v52, s[8:9] offset:768           // 000000005100: DD348300 00083406
	s_mov_b64 exec, s[36:37]                                   // 000000005108: BEFE0124
	v_mov_b32_e32 v6, v35                                      // 00000000510C: 7E0C0323
	s_mov_b64 s[60:61], 0                                      // 000000005110: BEBC0180
	v_readlane_b32 s82, v3, 2                                  // 000000005114: D2890052 00010503
	s_and_b32 s82, s82, 0xffffff                               // 00000000511C: 8652FF52 00FFFFFF
	s_cmp_lt_u32 s82, s66                                      // 000000005124: BF0A4252
	s_cselect_b32 s20, s36, s60                                // 000000005128: 85143C24
	v_readlane_b32 s82, v3, 3                                  // 00000000512C: D2890052 00010703
	s_and_b32 s82, s82, 0xffffff                               // 000000005134: 8652FF52 00FFFFFF
	s_cmp_lt_u32 s82, s66                                      // 00000000513C: BF0A4252
	s_cselect_b32 s21, s36, s60                                // 000000005140: 85153C24
	s_mov_b64 exec, s[20:21]                                   // 000000005144: BEFE0114
	global_atomic_add_f32 v6, v41, s[8:9]                      // 000000005148: DD348000 00082906
	global_atomic_add_f32 v6, v45, s[8:9] offset:256           // 000000005150: DD348100 00082D06
	global_atomic_add_f32 v6, v49, s[8:9] offset:512           // 000000005158: DD348200 00083106
	global_atomic_add_f32 v6, v53, s[8:9] offset:768           // 000000005160: DD348300 00083506
	s_mov_b64 exec, s[36:37]                                   // 000000005168: BEFE0124
	ds_write_b64 v20, v[42:43]                                 // 00000000516C: D89A0000 00002A14
	ds_write_b64 v20, v[46:47] offset:2176                     // 000000005174: D89A0880 00002E14
	ds_write_b64 v20, v[50:51] offset:4352                     // 00000000517C: D89A1100 00003214
	ds_write_b64 v20, v[54:55] offset:6528                     // 000000005184: D89A1980 00003614
	s_waitcnt lgkmcnt(0)                                       // 00000000518C: BF8CC07F
	s_barrier                                                  // 000000005190: BF8A0000
	ds_read_b32 v42, v21                                       // 000000005194: D86C0000 2A000015
	ds_read_b32 v43, v21 offset:64                             // 00000000519C: D86C0040 2B000015
	ds_read_b32 v46, v21 offset:2176                           // 0000000051A4: D86C0880 2E000015
	ds_read_b32 v47, v21 offset:2240                           // 0000000051AC: D86C08C0 2F000015
	ds_read_b32 v50, v21 offset:4352                           // 0000000051B4: D86C1100 32000015
	ds_read_b32 v51, v21 offset:4416                           // 0000000051BC: D86C1140 33000015
	ds_read_b32 v54, v21 offset:6528                           // 0000000051C4: D86C1980 36000015
	ds_read_b32 v55, v21 offset:6592                           // 0000000051CC: D86C19C0 37000015
	s_waitcnt lgkmcnt(0)                                       // 0000000051D4: BF8CC07F
	v_mov_b32_e32 v7, 0                                        // 0000000051D8: 7E0E0280
	s_mov_b64 exec, s[36:37]                                   // 0000000051DC: BEFE0124
	v_mov_b32_e32 v6, v34                                      // 0000000051E0: 7E0C0322
	s_mov_b64 s[60:61], 0                                      // 0000000051E4: BEBC0180
	v_readlane_b32 s82, v3, 0                                  // 0000000051E8: D2890052 00010103
	s_and_b32 s82, s82, 0xffffff                               // 0000000051F0: 8652FF52 00FFFFFF
	s_cmp_lt_u32 s82, s66                                      // 0000000051F8: BF0A4252
	s_cselect_b32 s20, s36, s60                                // 0000000051FC: 85143C24
	v_readlane_b32 s82, v3, 1                                  // 000000005200: D2890052 00010303
	s_and_b32 s82, s82, 0xffffff                               // 000000005208: 8652FF52 00FFFFFF
	s_cmp_lt_u32 s82, s66                                      // 000000005210: BF0A4252
	s_cselect_b32 s21, s36, s60                                // 000000005214: 85153C24
	s_mov_b64 exec, s[20:21]                                   // 000000005218: BEFE0114
	global_atomic_add_f32 v6, v42, s[8:9] offset:8             // 00000000521C: DD348008 00082A06
	global_atomic_add_f32 v6, v46, s[8:9] offset:264           // 000000005224: DD348108 00082E06
	global_atomic_add_f32 v6, v50, s[8:9] offset:520           // 00000000522C: DD348208 00083206
	global_atomic_add_f32 v6, v54, s[8:9] offset:776           // 000000005234: DD348308 00083606
	s_mov_b64 exec, s[36:37]                                   // 00000000523C: BEFE0124
	v_mov_b32_e32 v6, v35                                      // 000000005240: 7E0C0323
	s_mov_b64 s[60:61], 0                                      // 000000005244: BEBC0180
	v_readlane_b32 s82, v3, 2                                  // 000000005248: D2890052 00010503
	s_and_b32 s82, s82, 0xffffff                               // 000000005250: 8652FF52 00FFFFFF
	s_cmp_lt_u32 s82, s66                                      // 000000005258: BF0A4252
	s_cselect_b32 s20, s36, s60                                // 00000000525C: 85143C24
	v_readlane_b32 s82, v3, 3                                  // 000000005260: D2890052 00010703
	s_and_b32 s82, s82, 0xffffff                               // 000000005268: 8652FF52 00FFFFFF
	s_cmp_lt_u32 s82, s66                                      // 000000005270: BF0A4252
	s_cselect_b32 s21, s36, s60                                // 000000005274: 85153C24
	s_mov_b64 exec, s[20:21]                                   // 000000005278: BEFE0114
	global_atomic_add_f32 v6, v43, s[8:9] offset:8             // 00000000527C: DD348008 00082B06
	global_atomic_add_f32 v6, v47, s[8:9] offset:264           // 000000005284: DD348108 00082F06
	global_atomic_add_f32 v6, v51, s[8:9] offset:520           // 00000000528C: DD348208 00083306
	global_atomic_add_f32 v6, v55, s[8:9] offset:776           // 000000005294: DD348308 00083706
	s_mov_b64 exec, s[36:37]                                   // 00000000529C: BEFE0124
	ds_write_b64 v20, v[56:57]                                 // 0000000052A0: D89A0000 00003814
	ds_write_b64 v20, v[60:61] offset:2176                     // 0000000052A8: D89A0880 00003C14
	ds_write_b64 v20, v[64:65] offset:4352                     // 0000000052B0: D89A1100 00004014
	ds_write_b64 v20, v[68:69] offset:6528                     // 0000000052B8: D89A1980 00004414
	s_waitcnt lgkmcnt(0)                                       // 0000000052C0: BF8CC07F
	s_barrier                                                  // 0000000052C4: BF8A0000
	ds_read_b32 v56, v21                                       // 0000000052C8: D86C0000 38000015
	ds_read_b32 v57, v21 offset:64                             // 0000000052D0: D86C0040 39000015
	ds_read_b32 v60, v21 offset:2176                           // 0000000052D8: D86C0880 3C000015
	ds_read_b32 v61, v21 offset:2240                           // 0000000052E0: D86C08C0 3D000015
	ds_read_b32 v64, v21 offset:4352                           // 0000000052E8: D86C1100 40000015
	ds_read_b32 v65, v21 offset:4416                           // 0000000052F0: D86C1140 41000015
	ds_read_b32 v68, v21 offset:6528                           // 0000000052F8: D86C1980 44000015
	ds_read_b32 v69, v21 offset:6592                           // 000000005300: D86C19C0 45000015
	s_mul_i32 s60, s65, 4                                      // 000000005308: 923C8441
	s_add_u32 s8, s60, s8                                      // 00000000530C: 8008083C
	s_addc_u32 s9, 0, s9                                       // 000000005310: 82090980
	s_waitcnt lgkmcnt(0)                                       // 000000005314: BF8CC07F
	v_mov_b32_e32 v7, 0                                        // 000000005318: 7E0E0280
	s_mov_b64 exec, s[36:37]                                   // 00000000531C: BEFE0124
	v_mov_b32_e32 v6, v34                                      // 000000005320: 7E0C0322
	s_mov_b64 s[60:61], 0                                      // 000000005324: BEBC0180
	v_readlane_b32 s82, v3, 0                                  // 000000005328: D2890052 00010103
	s_and_b32 s82, s82, 0xffffff                               // 000000005330: 8652FF52 00FFFFFF
	s_cmp_lt_u32 s82, s66                                      // 000000005338: BF0A4252
	s_cselect_b32 s20, s36, s60                                // 00000000533C: 85143C24
	v_readlane_b32 s82, v3, 1                                  // 000000005340: D2890052 00010303
	s_and_b32 s82, s82, 0xffffff                               // 000000005348: 8652FF52 00FFFFFF
	s_cmp_lt_u32 s82, s66                                      // 000000005350: BF0A4252
	s_cselect_b32 s21, s36, s60                                // 000000005354: 85153C24
	s_mov_b64 exec, s[20:21]                                   // 000000005358: BEFE0114
	global_atomic_add_f32 v6, v56, s[8:9]                      // 00000000535C: DD348000 00083806
	global_atomic_add_f32 v6, v60, s[8:9] offset:256           // 000000005364: DD348100 00083C06
	global_atomic_add_f32 v6, v64, s[8:9] offset:512           // 00000000536C: DD348200 00084006
	global_atomic_add_f32 v6, v68, s[8:9] offset:768           // 000000005374: DD348300 00084406
	s_mov_b64 exec, s[36:37]                                   // 00000000537C: BEFE0124
	v_mov_b32_e32 v6, v35                                      // 000000005380: 7E0C0323
	s_mov_b64 s[60:61], 0                                      // 000000005384: BEBC0180
	v_readlane_b32 s82, v3, 2                                  // 000000005388: D2890052 00010503
	s_and_b32 s82, s82, 0xffffff                               // 000000005390: 8652FF52 00FFFFFF
	s_cmp_lt_u32 s82, s66                                      // 000000005398: BF0A4252
	s_cselect_b32 s20, s36, s60                                // 00000000539C: 85143C24
	v_readlane_b32 s82, v3, 3                                  // 0000000053A0: D2890052 00010703
	s_and_b32 s82, s82, 0xffffff                               // 0000000053A8: 8652FF52 00FFFFFF
	s_cmp_lt_u32 s82, s66                                      // 0000000053B0: BF0A4252
	s_cselect_b32 s21, s36, s60                                // 0000000053B4: 85153C24
	s_mov_b64 exec, s[20:21]                                   // 0000000053B8: BEFE0114
	global_atomic_add_f32 v6, v57, s[8:9]                      // 0000000053BC: DD348000 00083906
	global_atomic_add_f32 v6, v61, s[8:9] offset:256           // 0000000053C4: DD348100 00083D06
	global_atomic_add_f32 v6, v65, s[8:9] offset:512           // 0000000053CC: DD348200 00084106
	global_atomic_add_f32 v6, v69, s[8:9] offset:768           // 0000000053D4: DD348300 00084506
	s_mov_b64 exec, s[36:37]                                   // 0000000053DC: BEFE0124
	ds_write_b64 v20, v[58:59]                                 // 0000000053E0: D89A0000 00003A14
	ds_write_b64 v20, v[62:63] offset:2176                     // 0000000053E8: D89A0880 00003E14
	ds_write_b64 v20, v[66:67] offset:4352                     // 0000000053F0: D89A1100 00004214
	ds_write_b64 v20, v[70:71] offset:6528                     // 0000000053F8: D89A1980 00004614
	s_waitcnt lgkmcnt(0)                                       // 000000005400: BF8CC07F
	s_barrier                                                  // 000000005404: BF8A0000
	ds_read_b32 v58, v21                                       // 000000005408: D86C0000 3A000015
	ds_read_b32 v59, v21 offset:64                             // 000000005410: D86C0040 3B000015
	ds_read_b32 v62, v21 offset:2176                           // 000000005418: D86C0880 3E000015
	ds_read_b32 v63, v21 offset:2240                           // 000000005420: D86C08C0 3F000015
	ds_read_b32 v66, v21 offset:4352                           // 000000005428: D86C1100 42000015
	ds_read_b32 v67, v21 offset:4416                           // 000000005430: D86C1140 43000015
	ds_read_b32 v70, v21 offset:6528                           // 000000005438: D86C1980 46000015
	ds_read_b32 v71, v21 offset:6592                           // 000000005440: D86C19C0 47000015
	s_waitcnt lgkmcnt(0)                                       // 000000005448: BF8CC07F
	v_mov_b32_e32 v7, 0                                        // 00000000544C: 7E0E0280
	s_mov_b64 exec, s[36:37]                                   // 000000005450: BEFE0124
	v_mov_b32_e32 v6, v34                                      // 000000005454: 7E0C0322
	s_mov_b64 s[60:61], 0                                      // 000000005458: BEBC0180
	v_readlane_b32 s82, v3, 0                                  // 00000000545C: D2890052 00010103
	s_and_b32 s82, s82, 0xffffff                               // 000000005464: 8652FF52 00FFFFFF
	s_cmp_lt_u32 s82, s66                                      // 00000000546C: BF0A4252
	s_cselect_b32 s20, s36, s60                                // 000000005470: 85143C24
	v_readlane_b32 s82, v3, 1                                  // 000000005474: D2890052 00010303
	s_and_b32 s82, s82, 0xffffff                               // 00000000547C: 8652FF52 00FFFFFF
	s_cmp_lt_u32 s82, s66                                      // 000000005484: BF0A4252
	s_cselect_b32 s21, s36, s60                                // 000000005488: 85153C24
	s_mov_b64 exec, s[20:21]                                   // 00000000548C: BEFE0114
	global_atomic_add_f32 v6, v58, s[8:9] offset:8             // 000000005490: DD348008 00083A06
	global_atomic_add_f32 v6, v62, s[8:9] offset:264           // 000000005498: DD348108 00083E06
	global_atomic_add_f32 v6, v66, s[8:9] offset:520           // 0000000054A0: DD348208 00084206
	global_atomic_add_f32 v6, v70, s[8:9] offset:776           // 0000000054A8: DD348308 00084606
	s_mov_b64 exec, s[36:37]                                   // 0000000054B0: BEFE0124
	v_mov_b32_e32 v6, v35                                      // 0000000054B4: 7E0C0323
	s_mov_b64 s[60:61], 0                                      // 0000000054B8: BEBC0180
	v_readlane_b32 s82, v3, 2                                  // 0000000054BC: D2890052 00010503
	s_and_b32 s82, s82, 0xffffff                               // 0000000054C4: 8652FF52 00FFFFFF
	s_cmp_lt_u32 s82, s66                                      // 0000000054CC: BF0A4252
	s_cselect_b32 s20, s36, s60                                // 0000000054D0: 85143C24
	v_readlane_b32 s82, v3, 3                                  // 0000000054D4: D2890052 00010703
	s_and_b32 s82, s82, 0xffffff                               // 0000000054DC: 8652FF52 00FFFFFF
	s_cmp_lt_u32 s82, s66                                      // 0000000054E4: BF0A4252
	s_cselect_b32 s21, s36, s60                                // 0000000054E8: 85153C24
	s_mov_b64 exec, s[20:21]                                   // 0000000054EC: BEFE0114
	global_atomic_add_f32 v6, v59, s[8:9] offset:8             // 0000000054F0: DD348008 00083B06
	global_atomic_add_f32 v6, v63, s[8:9] offset:264           // 0000000054F8: DD348108 00083F06
	global_atomic_add_f32 v6, v67, s[8:9] offset:520           // 000000005500: DD348208 00084306
	global_atomic_add_f32 v6, v71, s[8:9] offset:776           // 000000005508: DD348308 00084706
	s_mov_b64 exec, s[36:37]                                   // 000000005510: BEFE0124
	s_branch label_13D9                                        // 000000005514: BF820910

0000000000005518 <label_0AC9>:
	s_waitcnt vmcnt(12) lgkmcnt(0)                             // 000000005518: BF8C007C
	v_mul_f32_dpp v4, v24, v31 row_newbcast:0 row_mask:0xf bank_mask:0xf// 00000000551C: 0A083EFA FF015018
	v_mfma_f32_16x16x32_fp8_fp8 v[8:11], a[16:17], a[0:1], 0   // 000000005524: D3F30008 1A020110
	buffer_load_dword v25, v22, s[32:35], 0 offen              // 00000000552C: E0501000 80081916
	buffer_load_dwordx4 a[80:83], v36, s[24:27], 0 offen       // 000000005534: E05C1000 80865024
	v_mfma_f32_16x16x32_fp8_fp8 v[8:11], a[18:19], a[2:3], v[8:11]// 00000000553C: D3F30008 1C220512
	v_mfma_f32_16x16x32_fp8_fp8 v[8:11], a[20:21], a[4:5], v[8:11]// 000000005544: D3F30008 1C220914
	v_mfma_f32_16x16x32_fp8_fp8 v[8:11], a[22:23], a[6:7], v[8:11]// 00000000554C: D3F30008 1C220D16
	v_mfma_f32_16x16x32_fp8_fp8 v[12:15], a[24:25], a[0:1], 0  // 000000005554: D3F3000C 1A020118
	buffer_load_dwordx4 a[84:87], v36, s[24:27], 0 offen offset:1024// 00000000555C: E05C1400 80865424
	v_mfma_f32_16x16x32_fp8_fp8 v[12:15], a[26:27], a[2:3], v[12:15]// 000000005564: D3F3000C 1C32051A
	v_mfma_f32_16x16x32_fp8_fp8 v[12:15], a[28:29], a[4:5], v[12:15]// 00000000556C: D3F3000C 1C32091C
	v_mfma_f32_16x16x32_fp8_fp8 v[12:15], a[30:31], a[6:7], v[12:15]// 000000005574: D3F3000C 1C320D1E
	v_fma_f32 v40, v8, v4, v40                                 // 00000000557C: D1CB0028 04A20908
	v_fma_f32 v41, v9, v4, v41                                 // 000000005584: D1CB0029 04A60909
	v_fma_f32 v42, v10, v4, v42                                // 00000000558C: D1CB002A 04AA090A
	v_fma_f32 v43, v11, v4, v43                                // 000000005594: D1CB002B 04AE090B
	v_mul_f32_dpp v6, v24, v31 row_newbcast:1 row_mask:0xf bank_mask:0xf// 00000000559C: 0A0C3EFA FF015118
	v_mfma_f32_16x16x32_fp8_fp8 v[8:11], a[32:33], a[0:1], 0   // 0000000055A4: D3F30008 1A020120
	buffer_load_dwordx4 a[88:91], v37, s[24:27], 0 offen       // 0000000055AC: E05C1000 80865825
	v_mfma_f32_16x16x32_fp8_fp8 v[8:11], a[34:35], a[2:3], v[8:11]// 0000000055B4: D3F30008 1C220522
	v_mfma_f32_16x16x32_fp8_fp8 v[8:11], a[36:37], a[4:5], v[8:11]// 0000000055BC: D3F30008 1C220924
	v_mfma_f32_16x16x32_fp8_fp8 v[8:11], a[38:39], a[6:7], v[8:11]// 0000000055C4: D3F30008 1C220D26
	v_fma_f32 v44, v12, v4, v44                                // 0000000055CC: D1CB002C 04B2090C
	v_fma_f32 v45, v13, v4, v45                                // 0000000055D4: D1CB002D 04B6090D
	v_fma_f32 v46, v14, v4, v46                                // 0000000055DC: D1CB002E 04BA090E
	v_fma_f32 v47, v15, v4, v47                                // 0000000055E4: D1CB002F 04BE090F
	v_mfma_f32_16x16x32_fp8_fp8 v[12:15], a[40:41], a[0:1], 0  // 0000000055EC: D3F3000C 1A020128
	buffer_load_dwordx4 a[92:95], v37, s[24:27], 0 offen offset:1024// 0000000055F4: E05C1400 80865C25
	v_mfma_f32_16x16x32_fp8_fp8 v[12:15], a[42:43], a[2:3], v[12:15]// 0000000055FC: D3F3000C 1C32052A
	v_mfma_f32_16x16x32_fp8_fp8 v[12:15], a[44:45], a[4:5], v[12:15]// 000000005604: D3F3000C 1C32092C
	v_mfma_f32_16x16x32_fp8_fp8 v[12:15], a[46:47], a[6:7], v[12:15]// 00000000560C: D3F3000C 1C320D2E
	v_fma_f32 v48, v8, v6, v48                                 // 000000005614: D1CB0030 04C20D08
	v_fma_f32 v49, v9, v6, v49                                 // 00000000561C: D1CB0031 04C60D09
	v_fma_f32 v50, v10, v6, v50                                // 000000005624: D1CB0032 04CA0D0A
	v_fma_f32 v51, v11, v6, v51                                // 00000000562C: D1CB0033 04CE0D0B
	v_fma_f32 v52, v12, v6, v52                                // 000000005634: D1CB0034 04D20D0C
	v_fma_f32 v53, v13, v6, v53                                // 00000000563C: D1CB0035 04D60D0D
	v_fma_f32 v54, v14, v6, v54                                // 000000005644: D1CB0036 04DA0D0E
	v_fma_f32 v55, v15, v6, v55                                // 00000000564C: D1CB0037 04DE0D0F
	buffer_load_dwordx4 a[96:99], v38, s[24:27], 0 offen       // 000000005654: E05C1000 80866026
	buffer_load_dwordx4 a[100:103], v38, s[24:27], 0 offen offset:1024// 00000000565C: E05C1400 80866426
	buffer_load_dwordx4 a[104:107], v39, s[24:27], 0 offen     // 000000005664: E05C1000 80866827
	buffer_load_dwordx4 a[108:111], v39, s[24:27], 0 offen offset:1024// 00000000566C: E05C1400 80866C27
	buffer_load_dword v34, s[20:23], 0 offen lds               // 000000005674: E0511000 80050022
	s_add_u32 m0, 0x100, s50                                   // 00000000567C: 807C32FF 00000100
	buffer_load_dword v35, s[20:23], 0 offen lds               // 000000005684: E0511000 80050023
	s_add_u32 m0, 0, s48                                       // 00000000568C: 807C3080
	buffer_load_dword v33, v30, s[28:31], 0 offen              // 000000005690: E0501000 8007211E
	s_waitcnt vmcnt(12)                                        // 000000005698: BF8C0F7C
	s_barrier                                                  // 00000000569C: BF8A0000
	v_mul_f32_dpp v4, v27, v31 row_newbcast:0 row_mask:0xf bank_mask:0xf// 0000000056A0: 0A083EFA FF01501B
	v_mfma_f32_16x16x32_fp8_fp8 v[8:11], a[48:49], a[0:1], 0   // 0000000056A8: D3F30008 1A020130
	buffer_load_dword v28, v23, s[32:35], 0 offen              // 0000000056B0: E0501000 80081C17
	buffer_load_dwordx4 a[16:19], v36, s[84:87], 0 offen       // 0000000056B8: E05C1000 80951024
	v_mfma_f32_16x16x32_fp8_fp8 v[8:11], a[50:51], a[2:3], v[8:11]// 0000000056C0: D3F30008 1C220532
	v_mfma_f32_16x16x32_fp8_fp8 v[8:11], a[52:53], a[4:5], v[8:11]// 0000000056C8: D3F30008 1C220934
	ds_read_b128 a[8:11], v2 offset:2176                       // 0000000056D0: DBFE0880 08000002
	ds_read_b128 a[12:15], v2 offset:2240                      // 0000000056D8: DBFE08C0 0C000002
	v_mfma_f32_16x16x32_fp8_fp8 v[8:11], a[54:55], a[6:7], v[8:11]// 0000000056E0: D3F30008 1C220D36
	v_mfma_f32_16x16x32_fp8_fp8 v[12:15], a[56:57], a[0:1], 0  // 0000000056E8: D3F3000C 1A020138
	buffer_load_dwordx4 a[20:23], v36, s[84:87], 0 offen offset:1024// 0000000056F0: E05C1400 80951424
	v_mfma_f32_16x16x32_fp8_fp8 v[12:15], a[58:59], a[2:3], v[12:15]// 0000000056F8: D3F3000C 1C32053A
	v_mfma_f32_16x16x32_fp8_fp8 v[12:15], a[60:61], a[4:5], v[12:15]// 000000005700: D3F3000C 1C32093C
	v_mfma_f32_16x16x32_fp8_fp8 v[12:15], a[62:63], a[6:7], v[12:15]// 000000005708: D3F3000C 1C320D3E
	v_fma_f32 v56, v8, v4, v56                                 // 000000005710: D1CB0038 04E20908
	v_fma_f32 v57, v9, v4, v57                                 // 000000005718: D1CB0039 04E60909
	v_fma_f32 v58, v10, v4, v58                                // 000000005720: D1CB003A 04EA090A
	v_fma_f32 v59, v11, v4, v59                                // 000000005728: D1CB003B 04EE090B
	v_mul_f32_dpp v6, v27, v31 row_newbcast:1 row_mask:0xf bank_mask:0xf// 000000005730: 0A0C3EFA FF01511B
	v_mfma_f32_16x16x32_fp8_fp8 v[8:11], a[64:65], a[0:1], 0   // 000000005738: D3F30008 1A020140
	buffer_load_dwordx4 a[24:27], v37, s[84:87], 0 offen       // 000000005740: E05C1000 80951825
	s_add_u32 s60, 0x180, s80                                  // 000000005748: 803C50FF 00000180
	s_cmp_lt_u32 s60, s81                                      // 000000005750: BF0A513C
	s_cselect_b32 s57, s57, 0                                  // 000000005754: 85398039
	s_cselect_b32 s3, s3, 0                                    // 000000005758: 85038003
	v_mfma_f32_16x16x32_fp8_fp8 v[8:11], a[66:67], a[2:3], v[8:11]// 00000000575C: D3F30008 1C220542
	s_add_u32 s60, 0x100, s80                                  // 000000005764: 803C50FF 00000100
	s_cmp_lt_u32 s60, s81                                      // 00000000576C: BF0A513C
	s_cselect_b32 s58, s58, 0                                  // 000000005770: 853A803A
	v_mfma_f32_16x16x32_fp8_fp8 v[8:11], a[68:69], a[4:5], v[8:11]// 000000005774: D3F30008 1C220944
	s_add_u32 s60, 0x100, s80                                  // 00000000577C: 803C50FF 00000100
	s_cmp_lt_u32 s60, s81                                      // 000000005784: BF0A513C
	s_cselect_b32 s83, s83, 0                                  // 000000005788: 85538053
	s_cselect_b32 s4, s4, 0                                    // 00000000578C: 85048004
	v_mfma_f32_16x16x32_fp8_fp8 v[8:11], a[70:71], a[6:7], v[8:11]// 000000005790: D3F30008 1C220D46
	s_add_u32 s24, s58, s24                                    // 000000005798: 8018183A
	s_addc_u32 s25, 0, s25                                     // 00000000579C: 82191980
	v_fma_f32 v60, v12, v4, v60                                // 0000000057A0: D1CB003C 04F2090C
	v_fma_f32 v61, v13, v4, v61                                // 0000000057A8: D1CB003D 04F6090D
	v_fma_f32 v62, v14, v4, v62                                // 0000000057B0: D1CB003E 04FA090E
	v_fma_f32 v63, v15, v4, v63                                // 0000000057B8: D1CB003F 04FE090F
	v_mfma_f32_16x16x32_fp8_fp8 v[12:15], a[72:73], a[0:1], 0  // 0000000057C0: D3F3000C 1A020148
	buffer_load_dwordx4 a[28:31], v37, s[84:87], 0 offen offset:1024// 0000000057C8: E05C1400 80951C25
	s_add_u32 s20, s57, s20                                    // 0000000057D0: 80141439
	s_addc_u32 s21, 0, s21                                     // 0000000057D4: 82151580
	s_add_u32 s28, s3, s28                                     // 0000000057D8: 801C1C03
	s_addc_u32 s29, 0, s29                                     // 0000000057DC: 821D1D80
	v_mfma_f32_16x16x32_fp8_fp8 v[12:15], a[74:75], a[2:3], v[12:15]// 0000000057E0: D3F3000C 1C32054A
	v_mfma_f32_16x16x32_fp8_fp8 v[12:15], a[76:77], a[4:5], v[12:15]// 0000000057E8: D3F3000C 1C32094C
	s_add_u32 s32, s4, s32                                     // 0000000057F0: 80202004
	s_addc_u32 s33, 0, s33                                     // 0000000057F4: 82212180
	v_mfma_f32_16x16x32_fp8_fp8 v[12:15], a[78:79], a[6:7], v[12:15]// 0000000057F8: D3F3000C 1C320D4E
	v_fma_f32 v64, v8, v6, v64                                 // 000000005800: D1CB0040 05020D08
	v_fma_f32 v65, v9, v6, v65                                 // 000000005808: D1CB0041 05060D09
	v_fma_f32 v66, v10, v6, v66                                // 000000005810: D1CB0042 050A0D0A
	v_fma_f32 v67, v11, v6, v67                                // 000000005818: D1CB0043 050E0D0B
	v_fma_f32 v68, v12, v6, v68                                // 000000005820: D1CB0044 05120D0C
	v_fma_f32 v69, v13, v6, v69                                // 000000005828: D1CB0045 05160D0D
	v_fma_f32 v70, v14, v6, v70                                // 000000005830: D1CB0046 051A0D0E
	v_fma_f32 v71, v15, v6, v71                                // 000000005838: D1CB0047 051E0D0F
	buffer_load_dwordx4 a[32:35], v38, s[84:87], 0 offen       // 000000005840: E05C1000 80952026
	buffer_load_dwordx4 a[36:39], v38, s[84:87], 0 offen offset:1024// 000000005848: E05C1400 80952426
	buffer_load_dwordx4 a[40:43], v39, s[84:87], 0 offen       // 000000005850: E05C1000 80952827
	buffer_load_dwordx4 a[44:47], v39, s[84:87], 0 offen offset:1024// 000000005858: E05C1400 80952C27
	s_add_u32 s84, s83, s84                                    // 000000005860: 80545453
	s_addc_u32 s85, 0, s85                                     // 000000005864: 82555580
	s_addk_i32 s80, 0x80                                       // 000000005868: B7500080
	s_cmp_lt_i32 s80, s81                                      // 00000000586C: BF045150
	s_cbranch_scc0 label_0FD4                                  // 000000005870: BF840434
	s_waitcnt vmcnt(12) lgkmcnt(0)                             // 000000005874: BF8C007C
	v_mul_f32_dpp v4, v25, v32 row_newbcast:0 row_mask:0xf bank_mask:0xf// 000000005878: 0A0840FA FF015019
	v_mfma_f32_16x16x32_fp8_fp8 v[8:11], a[80:81], a[8:9], 0   // 000000005880: D3F30008 1A021150
	buffer_load_dword v26, v22, s[32:35], 0 offen              // 000000005888: E0501000 80081A16
	buffer_load_dwordx4 a[48:51], v36, s[24:27], 0 offen       // 000000005890: E05C1000 80863024
	v_mfma_f32_16x16x32_fp8_fp8 v[8:11], a[82:83], a[10:11], v[8:11]// 000000005898: D3F30008 1C221552
	v_mfma_f32_16x16x32_fp8_fp8 v[8:11], a[84:85], a[12:13], v[8:11]// 0000000058A0: D3F30008 1C221954
	v_mfma_f32_16x16x32_fp8_fp8 v[8:11], a[86:87], a[14:15], v[8:11]// 0000000058A8: D3F30008 1C221D56
	v_mfma_f32_16x16x32_fp8_fp8 v[12:15], a[88:89], a[8:9], 0  // 0000000058B0: D3F3000C 1A021158
	buffer_load_dwordx4 a[52:55], v36, s[24:27], 0 offen offset:1024// 0000000058B8: E05C1400 80863424
	v_mfma_f32_16x16x32_fp8_fp8 v[12:15], a[90:91], a[10:11], v[12:15]// 0000000058C0: D3F3000C 1C32155A
	v_mfma_f32_16x16x32_fp8_fp8 v[12:15], a[92:93], a[12:13], v[12:15]// 0000000058C8: D3F3000C 1C32195C
	v_mfma_f32_16x16x32_fp8_fp8 v[12:15], a[94:95], a[14:15], v[12:15]// 0000000058D0: D3F3000C 1C321D5E
	v_fma_f32 v40, v8, v4, v40                                 // 0000000058D8: D1CB0028 04A20908
	v_fma_f32 v41, v9, v4, v41                                 // 0000000058E0: D1CB0029 04A60909
	v_fma_f32 v42, v10, v4, v42                                // 0000000058E8: D1CB002A 04AA090A
	v_fma_f32 v43, v11, v4, v43                                // 0000000058F0: D1CB002B 04AE090B
	v_mul_f32_dpp v6, v25, v32 row_newbcast:1 row_mask:0xf bank_mask:0xf// 0000000058F8: 0A0C40FA FF015119
	v_mfma_f32_16x16x32_fp8_fp8 v[8:11], a[96:97], a[8:9], 0   // 000000005900: D3F30008 1A021160
	buffer_load_dwordx4 a[56:59], v37, s[24:27], 0 offen       // 000000005908: E05C1000 80863825
	v_mfma_f32_16x16x32_fp8_fp8 v[8:11], a[98:99], a[10:11], v[8:11]// 000000005910: D3F30008 1C221562
	v_mfma_f32_16x16x32_fp8_fp8 v[8:11], a[100:101], a[12:13], v[8:11]// 000000005918: D3F30008 1C221964
	v_mfma_f32_16x16x32_fp8_fp8 v[8:11], a[102:103], a[14:15], v[8:11]// 000000005920: D3F30008 1C221D66
	v_fma_f32 v44, v12, v4, v44                                // 000000005928: D1CB002C 04B2090C
	v_fma_f32 v45, v13, v4, v45                                // 000000005930: D1CB002D 04B6090D
	v_fma_f32 v46, v14, v4, v46                                // 000000005938: D1CB002E 04BA090E
	v_fma_f32 v47, v15, v4, v47                                // 000000005940: D1CB002F 04BE090F
	v_mfma_f32_16x16x32_fp8_fp8 v[12:15], a[104:105], a[8:9], 0// 000000005948: D3F3000C 1A021168
	buffer_load_dwordx4 a[60:63], v37, s[24:27], 0 offen offset:1024// 000000005950: E05C1400 80863C25
	v_mfma_f32_16x16x32_fp8_fp8 v[12:15], a[106:107], a[10:11], v[12:15]// 000000005958: D3F3000C 1C32156A
	v_mfma_f32_16x16x32_fp8_fp8 v[12:15], a[108:109], a[12:13], v[12:15]// 000000005960: D3F3000C 1C32196C
	v_mfma_f32_16x16x32_fp8_fp8 v[12:15], a[110:111], a[14:15], v[12:15]// 000000005968: D3F3000C 1C321D6E
	v_fma_f32 v48, v8, v6, v48                                 // 000000005970: D1CB0030 04C20D08
	v_fma_f32 v49, v9, v6, v49                                 // 000000005978: D1CB0031 04C60D09
	v_fma_f32 v50, v10, v6, v50                                // 000000005980: D1CB0032 04CA0D0A
	v_fma_f32 v51, v11, v6, v51                                // 000000005988: D1CB0033 04CE0D0B
	v_fma_f32 v52, v12, v6, v52                                // 000000005990: D1CB0034 04D20D0C
	v_fma_f32 v53, v13, v6, v53                                // 000000005998: D1CB0035 04D60D0D
	v_fma_f32 v54, v14, v6, v54                                // 0000000059A0: D1CB0036 04DA0D0E
	v_fma_f32 v55, v15, v6, v55                                // 0000000059A8: D1CB0037 04DE0D0F
	buffer_load_dwordx4 a[64:67], v38, s[24:27], 0 offen       // 0000000059B0: E05C1000 80864026
	buffer_load_dwordx4 a[68:71], v38, s[24:27], 0 offen offset:1024// 0000000059B8: E05C1400 80864426
	buffer_load_dwordx4 a[72:75], v39, s[24:27], 0 offen       // 0000000059C0: E05C1000 80864827
	buffer_load_dwordx4 a[76:79], v39, s[24:27], 0 offen offset:1024// 0000000059C8: E05C1400 80864C27
	buffer_load_dword v34, s[20:23], 0 offen lds               // 0000000059D0: E0511000 80050022
	s_add_u32 m0, 0x100, s48                                   // 0000000059D8: 807C30FF 00000100
	buffer_load_dword v35, s[20:23], 0 offen lds               // 0000000059E0: E0511000 80050023
	s_add_u32 m0, 0, s49                                       // 0000000059E8: 807C3180
	buffer_load_dword v31, v30, s[28:31], 0 offen              // 0000000059EC: E0501000 80071F1E
	s_waitcnt vmcnt(12)                                        // 0000000059F4: BF8C0F7C
	s_barrier                                                  // 0000000059F8: BF8A0000
	v_mul_f32_dpp v4, v28, v32 row_newbcast:0 row_mask:0xf bank_mask:0xf// 0000000059FC: 0A0840FA FF01501C
	v_mfma_f32_16x16x32_fp8_fp8 v[8:11], a[16:17], a[8:9], 0   // 000000005A04: D3F30008 1A021110
	buffer_load_dword v29, v23, s[32:35], 0 offen              // 000000005A0C: E0501000 80081D17
	buffer_load_dwordx4 a[80:83], v36, s[84:87], 0 offen       // 000000005A14: E05C1000 80955024
	v_mfma_f32_16x16x32_fp8_fp8 v[8:11], a[18:19], a[10:11], v[8:11]// 000000005A1C: D3F30008 1C221512
	v_mfma_f32_16x16x32_fp8_fp8 v[8:11], a[20:21], a[12:13], v[8:11]// 000000005A24: D3F30008 1C221914
	ds_read_b128 a[0:3], v2 offset:4352                        // 000000005A2C: DBFE1100 00000002
	ds_read_b128 a[4:7], v2 offset:4416                        // 000000005A34: DBFE1140 04000002
	v_mfma_f32_16x16x32_fp8_fp8 v[8:11], a[22:23], a[14:15], v[8:11]// 000000005A3C: D3F30008 1C221D16
	v_mfma_f32_16x16x32_fp8_fp8 v[12:15], a[24:25], a[8:9], 0  // 000000005A44: D3F3000C 1A021118
	buffer_load_dwordx4 a[84:87], v36, s[84:87], 0 offen offset:1024// 000000005A4C: E05C1400 80955424
	v_mfma_f32_16x16x32_fp8_fp8 v[12:15], a[26:27], a[10:11], v[12:15]// 000000005A54: D3F3000C 1C32151A
	v_mfma_f32_16x16x32_fp8_fp8 v[12:15], a[28:29], a[12:13], v[12:15]// 000000005A5C: D3F3000C 1C32191C
	v_mfma_f32_16x16x32_fp8_fp8 v[12:15], a[30:31], a[14:15], v[12:15]// 000000005A64: D3F3000C 1C321D1E
	v_fma_f32 v56, v8, v4, v56                                 // 000000005A6C: D1CB0038 04E20908
	v_fma_f32 v57, v9, v4, v57                                 // 000000005A74: D1CB0039 04E60909
	v_fma_f32 v58, v10, v4, v58                                // 000000005A7C: D1CB003A 04EA090A
	v_fma_f32 v59, v11, v4, v59                                // 000000005A84: D1CB003B 04EE090B
	v_mul_f32_dpp v6, v28, v32 row_newbcast:1 row_mask:0xf bank_mask:0xf// 000000005A8C: 0A0C40FA FF01511C
	v_mfma_f32_16x16x32_fp8_fp8 v[8:11], a[32:33], a[8:9], 0   // 000000005A94: D3F30008 1A021120
	buffer_load_dwordx4 a[88:91], v37, s[84:87], 0 offen       // 000000005A9C: E05C1000 80955825
	s_add_u32 s60, 0x180, s80                                  // 000000005AA4: 803C50FF 00000180
	s_cmp_lt_u32 s60, s81                                      // 000000005AAC: BF0A513C
	s_cselect_b32 s57, s57, 0                                  // 000000005AB0: 85398039
	s_cselect_b32 s3, s3, 0                                    // 000000005AB4: 85038003
	v_mfma_f32_16x16x32_fp8_fp8 v[8:11], a[34:35], a[10:11], v[8:11]// 000000005AB8: D3F30008 1C221522
	s_add_u32 s60, 0x100, s80                                  // 000000005AC0: 803C50FF 00000100
	s_cmp_lt_u32 s60, s81                                      // 000000005AC8: BF0A513C
	s_cselect_b32 s58, s58, 0                                  // 000000005ACC: 853A803A
	v_mfma_f32_16x16x32_fp8_fp8 v[8:11], a[36:37], a[12:13], v[8:11]// 000000005AD0: D3F30008 1C221924
	s_add_u32 s60, 0x100, s80                                  // 000000005AD8: 803C50FF 00000100
	s_cmp_lt_u32 s60, s81                                      // 000000005AE0: BF0A513C
	s_cselect_b32 s83, s83, 0                                  // 000000005AE4: 85538053
	s_cselect_b32 s4, s4, 0                                    // 000000005AE8: 85048004
	v_mfma_f32_16x16x32_fp8_fp8 v[8:11], a[38:39], a[14:15], v[8:11]// 000000005AEC: D3F30008 1C221D26
	s_add_u32 s24, s58, s24                                    // 000000005AF4: 8018183A
	s_addc_u32 s25, 0, s25                                     // 000000005AF8: 82191980
	v_fma_f32 v60, v12, v4, v60                                // 000000005AFC: D1CB003C 04F2090C
	v_fma_f32 v61, v13, v4, v61                                // 000000005B04: D1CB003D 04F6090D
	v_fma_f32 v62, v14, v4, v62                                // 000000005B0C: D1CB003E 04FA090E
	v_fma_f32 v63, v15, v4, v63                                // 000000005B14: D1CB003F 04FE090F
	v_mfma_f32_16x16x32_fp8_fp8 v[12:15], a[40:41], a[8:9], 0  // 000000005B1C: D3F3000C 1A021128
	buffer_load_dwordx4 a[92:95], v37, s[84:87], 0 offen offset:1024// 000000005B24: E05C1400 80955C25
	s_add_u32 s20, s57, s20                                    // 000000005B2C: 80141439
	s_addc_u32 s21, 0, s21                                     // 000000005B30: 82151580
	s_add_u32 s28, s3, s28                                     // 000000005B34: 801C1C03
	s_addc_u32 s29, 0, s29                                     // 000000005B38: 821D1D80
	v_mfma_f32_16x16x32_fp8_fp8 v[12:15], a[42:43], a[10:11], v[12:15]// 000000005B3C: D3F3000C 1C32152A
	v_mfma_f32_16x16x32_fp8_fp8 v[12:15], a[44:45], a[12:13], v[12:15]// 000000005B44: D3F3000C 1C32192C
	s_add_u32 s32, s4, s32                                     // 000000005B4C: 80202004
	s_addc_u32 s33, 0, s33                                     // 000000005B50: 82212180
	v_mfma_f32_16x16x32_fp8_fp8 v[12:15], a[46:47], a[14:15], v[12:15]// 000000005B54: D3F3000C 1C321D2E
	v_fma_f32 v64, v8, v6, v64                                 // 000000005B5C: D1CB0040 05020D08
	v_fma_f32 v65, v9, v6, v65                                 // 000000005B64: D1CB0041 05060D09
	v_fma_f32 v66, v10, v6, v66                                // 000000005B6C: D1CB0042 050A0D0A
	v_fma_f32 v67, v11, v6, v67                                // 000000005B74: D1CB0043 050E0D0B
	v_fma_f32 v68, v12, v6, v68                                // 000000005B7C: D1CB0044 05120D0C
	v_fma_f32 v69, v13, v6, v69                                // 000000005B84: D1CB0045 05160D0D
	v_fma_f32 v70, v14, v6, v70                                // 000000005B8C: D1CB0046 051A0D0E
	v_fma_f32 v71, v15, v6, v71                                // 000000005B94: D1CB0047 051E0D0F
	buffer_load_dwordx4 a[96:99], v38, s[84:87], 0 offen       // 000000005B9C: E05C1000 80956026
	buffer_load_dwordx4 a[100:103], v38, s[84:87], 0 offen offset:1024// 000000005BA4: E05C1400 80956426
	buffer_load_dwordx4 a[104:107], v39, s[84:87], 0 offen     // 000000005BAC: E05C1000 80956827
	buffer_load_dwordx4 a[108:111], v39, s[84:87], 0 offen offset:1024// 000000005BB4: E05C1400 80956C27
	s_add_u32 s84, s83, s84                                    // 000000005BBC: 80545453
	s_addc_u32 s85, 0, s85                                     // 000000005BC0: 82555580
	s_addk_i32 s80, 0x80                                       // 000000005BC4: B7500080
	s_cmp_lt_i32 s80, s81                                      // 000000005BC8: BF045150
	s_cbranch_scc0 label_0FD4                                  // 000000005BCC: BF84035D
	s_waitcnt vmcnt(12) lgkmcnt(0)                             // 000000005BD0: BF8C007C
	v_mul_f32_dpp v4, v26, v33 row_newbcast:0 row_mask:0xf bank_mask:0xf// 000000005BD4: 0A0842FA FF01501A
	v_mfma_f32_16x16x32_fp8_fp8 v[8:11], a[48:49], a[0:1], 0   // 000000005BDC: D3F30008 1A020130
	buffer_load_dword v24, v22, s[32:35], 0 offen              // 000000005BE4: E0501000 80081816
	buffer_load_dwordx4 a[16:19], v36, s[24:27], 0 offen       // 000000005BEC: E05C1000 80861024
	v_mfma_f32_16x16x32_fp8_fp8 v[8:11], a[50:51], a[2:3], v[8:11]// 000000005BF4: D3F30008 1C220532
	v_mfma_f32_16x16x32_fp8_fp8 v[8:11], a[52:53], a[4:5], v[8:11]// 000000005BFC: D3F30008 1C220934
	v_mfma_f32_16x16x32_fp8_fp8 v[8:11], a[54:55], a[6:7], v[8:11]// 000000005C04: D3F30008 1C220D36
	v_mfma_f32_16x16x32_fp8_fp8 v[12:15], a[56:57], a[0:1], 0  // 000000005C0C: D3F3000C 1A020138
	buffer_load_dwordx4 a[20:23], v36, s[24:27], 0 offen offset:1024// 000000005C14: E05C1400 80861424
	v_mfma_f32_16x16x32_fp8_fp8 v[12:15], a[58:59], a[2:3], v[12:15]// 000000005C1C: D3F3000C 1C32053A
	v_mfma_f32_16x16x32_fp8_fp8 v[12:15], a[60:61], a[4:5], v[12:15]// 000000005C24: D3F3000C 1C32093C
	v_mfma_f32_16x16x32_fp8_fp8 v[12:15], a[62:63], a[6:7], v[12:15]// 000000005C2C: D3F3000C 1C320D3E
	v_fma_f32 v40, v8, v4, v40                                 // 000000005C34: D1CB0028 04A20908
	v_fma_f32 v41, v9, v4, v41                                 // 000000005C3C: D1CB0029 04A60909
	v_fma_f32 v42, v10, v4, v42                                // 000000005C44: D1CB002A 04AA090A
	v_fma_f32 v43, v11, v4, v43                                // 000000005C4C: D1CB002B 04AE090B
	v_mul_f32_dpp v6, v26, v33 row_newbcast:1 row_mask:0xf bank_mask:0xf// 000000005C54: 0A0C42FA FF01511A
	v_mfma_f32_16x16x32_fp8_fp8 v[8:11], a[64:65], a[0:1], 0   // 000000005C5C: D3F30008 1A020140
	buffer_load_dwordx4 a[24:27], v37, s[24:27], 0 offen       // 000000005C64: E05C1000 80861825
	v_mfma_f32_16x16x32_fp8_fp8 v[8:11], a[66:67], a[2:3], v[8:11]// 000000005C6C: D3F30008 1C220542
	v_mfma_f32_16x16x32_fp8_fp8 v[8:11], a[68:69], a[4:5], v[8:11]// 000000005C74: D3F30008 1C220944
	v_mfma_f32_16x16x32_fp8_fp8 v[8:11], a[70:71], a[6:7], v[8:11]// 000000005C7C: D3F30008 1C220D46
	v_fma_f32 v44, v12, v4, v44                                // 000000005C84: D1CB002C 04B2090C
	v_fma_f32 v45, v13, v4, v45                                // 000000005C8C: D1CB002D 04B6090D
	v_fma_f32 v46, v14, v4, v46                                // 000000005C94: D1CB002E 04BA090E
	v_fma_f32 v47, v15, v4, v47                                // 000000005C9C: D1CB002F 04BE090F
	v_mfma_f32_16x16x32_fp8_fp8 v[12:15], a[72:73], a[0:1], 0  // 000000005CA4: D3F3000C 1A020148
	buffer_load_dwordx4 a[28:31], v37, s[24:27], 0 offen offset:1024// 000000005CAC: E05C1400 80861C25
	v_mfma_f32_16x16x32_fp8_fp8 v[12:15], a[74:75], a[2:3], v[12:15]// 000000005CB4: D3F3000C 1C32054A
	v_mfma_f32_16x16x32_fp8_fp8 v[12:15], a[76:77], a[4:5], v[12:15]// 000000005CBC: D3F3000C 1C32094C
	v_mfma_f32_16x16x32_fp8_fp8 v[12:15], a[78:79], a[6:7], v[12:15]// 000000005CC4: D3F3000C 1C320D4E
	v_fma_f32 v48, v8, v6, v48                                 // 000000005CCC: D1CB0030 04C20D08
	v_fma_f32 v49, v9, v6, v49                                 // 000000005CD4: D1CB0031 04C60D09
	v_fma_f32 v50, v10, v6, v50                                // 000000005CDC: D1CB0032 04CA0D0A
	v_fma_f32 v51, v11, v6, v51                                // 000000005CE4: D1CB0033 04CE0D0B
	v_fma_f32 v52, v12, v6, v52                                // 000000005CEC: D1CB0034 04D20D0C
	v_fma_f32 v53, v13, v6, v53                                // 000000005CF4: D1CB0035 04D60D0D
	v_fma_f32 v54, v14, v6, v54                                // 000000005CFC: D1CB0036 04DA0D0E
	v_fma_f32 v55, v15, v6, v55                                // 000000005D04: D1CB0037 04DE0D0F
	buffer_load_dwordx4 a[32:35], v38, s[24:27], 0 offen       // 000000005D0C: E05C1000 80862026
	buffer_load_dwordx4 a[36:39], v38, s[24:27], 0 offen offset:1024// 000000005D14: E05C1400 80862426
	buffer_load_dwordx4 a[40:43], v39, s[24:27], 0 offen       // 000000005D1C: E05C1000 80862827
	buffer_load_dwordx4 a[44:47], v39, s[24:27], 0 offen offset:1024// 000000005D24: E05C1400 80862C27
	buffer_load_dword v34, s[20:23], 0 offen lds               // 000000005D2C: E0511000 80050022
	s_add_u32 m0, 0x100, s49                                   // 000000005D34: 807C31FF 00000100
	buffer_load_dword v35, s[20:23], 0 offen lds               // 000000005D3C: E0511000 80050023
	s_add_u32 m0, 0, s50                                       // 000000005D44: 807C3280
	buffer_load_dword v32, v30, s[28:31], 0 offen              // 000000005D48: E0501000 8007201E
	s_waitcnt vmcnt(12)                                        // 000000005D50: BF8C0F7C
	s_barrier                                                  // 000000005D54: BF8A0000
	v_mul_f32_dpp v4, v29, v33 row_newbcast:0 row_mask:0xf bank_mask:0xf// 000000005D58: 0A0842FA FF01501D
	v_mfma_f32_16x16x32_fp8_fp8 v[8:11], a[80:81], a[0:1], 0   // 000000005D60: D3F30008 1A020150
	buffer_load_dword v27, v23, s[32:35], 0 offen              // 000000005D68: E0501000 80081B17
	buffer_load_dwordx4 a[48:51], v36, s[84:87], 0 offen       // 000000005D70: E05C1000 80953024
	v_mfma_f32_16x16x32_fp8_fp8 v[8:11], a[82:83], a[2:3], v[8:11]// 000000005D78: D3F30008 1C220552
	v_mfma_f32_16x16x32_fp8_fp8 v[8:11], a[84:85], a[4:5], v[8:11]// 000000005D80: D3F30008 1C220954
	ds_read_b128 a[8:11], v2                                   // 000000005D88: DBFE0000 08000002
	ds_read_b128 a[12:15], v2 offset:64                        // 000000005D90: DBFE0040 0C000002
	v_mfma_f32_16x16x32_fp8_fp8 v[8:11], a[86:87], a[6:7], v[8:11]// 000000005D98: D3F30008 1C220D56
	v_mfma_f32_16x16x32_fp8_fp8 v[12:15], a[88:89], a[0:1], 0  // 000000005DA0: D3F3000C 1A020158
	buffer_load_dwordx4 a[52:55], v36, s[84:87], 0 offen offset:1024// 000000005DA8: E05C1400 80953424
	v_mfma_f32_16x16x32_fp8_fp8 v[12:15], a[90:91], a[2:3], v[12:15]// 000000005DB0: D3F3000C 1C32055A
	v_mfma_f32_16x16x32_fp8_fp8 v[12:15], a[92:93], a[4:5], v[12:15]// 000000005DB8: D3F3000C 1C32095C
	v_mfma_f32_16x16x32_fp8_fp8 v[12:15], a[94:95], a[6:7], v[12:15]// 000000005DC0: D3F3000C 1C320D5E
	v_fma_f32 v56, v8, v4, v56                                 // 000000005DC8: D1CB0038 04E20908
	v_fma_f32 v57, v9, v4, v57                                 // 000000005DD0: D1CB0039 04E60909
	v_fma_f32 v58, v10, v4, v58                                // 000000005DD8: D1CB003A 04EA090A
	v_fma_f32 v59, v11, v4, v59                                // 000000005DE0: D1CB003B 04EE090B
	v_mul_f32_dpp v6, v29, v33 row_newbcast:1 row_mask:0xf bank_mask:0xf// 000000005DE8: 0A0C42FA FF01511D
	v_mfma_f32_16x16x32_fp8_fp8 v[8:11], a[96:97], a[0:1], 0   // 000000005DF0: D3F30008 1A020160
	buffer_load_dwordx4 a[56:59], v37, s[84:87], 0 offen       // 000000005DF8: E05C1000 80953825
	s_add_u32 s60, 0x180, s80                                  // 000000005E00: 803C50FF 00000180
	s_cmp_lt_u32 s60, s81                                      // 000000005E08: BF0A513C
	s_cselect_b32 s57, s57, 0                                  // 000000005E0C: 85398039
	s_cselect_b32 s3, s3, 0                                    // 000000005E10: 85038003
	v_mfma_f32_16x16x32_fp8_fp8 v[8:11], a[98:99], a[2:3], v[8:11]// 000000005E14: D3F30008 1C220562
	s_add_u32 s60, 0x100, s80                                  // 000000005E1C: 803C50FF 00000100
	s_cmp_lt_u32 s60, s81                                      // 000000005E24: BF0A513C
	s_cselect_b32 s58, s58, 0                                  // 000000005E28: 853A803A
	v_mfma_f32_16x16x32_fp8_fp8 v[8:11], a[100:101], a[4:5], v[8:11]// 000000005E2C: D3F30008 1C220964
	s_add_u32 s60, 0x100, s80                                  // 000000005E34: 803C50FF 00000100
	s_cmp_lt_u32 s60, s81                                      // 000000005E3C: BF0A513C
	s_cselect_b32 s83, s83, 0                                  // 000000005E40: 85538053
	s_cselect_b32 s4, s4, 0                                    // 000000005E44: 85048004
	v_mfma_f32_16x16x32_fp8_fp8 v[8:11], a[102:103], a[6:7], v[8:11]// 000000005E48: D3F30008 1C220D66
	s_add_u32 s24, s58, s24                                    // 000000005E50: 8018183A
	s_addc_u32 s25, 0, s25                                     // 000000005E54: 82191980
	v_fma_f32 v60, v12, v4, v60                                // 000000005E58: D1CB003C 04F2090C
	v_fma_f32 v61, v13, v4, v61                                // 000000005E60: D1CB003D 04F6090D
	v_fma_f32 v62, v14, v4, v62                                // 000000005E68: D1CB003E 04FA090E
	v_fma_f32 v63, v15, v4, v63                                // 000000005E70: D1CB003F 04FE090F
	v_mfma_f32_16x16x32_fp8_fp8 v[12:15], a[104:105], a[0:1], 0// 000000005E78: D3F3000C 1A020168
	buffer_load_dwordx4 a[60:63], v37, s[84:87], 0 offen offset:1024// 000000005E80: E05C1400 80953C25
	s_add_u32 s20, s57, s20                                    // 000000005E88: 80141439
	s_addc_u32 s21, 0, s21                                     // 000000005E8C: 82151580
	s_add_u32 s28, s3, s28                                     // 000000005E90: 801C1C03
	s_addc_u32 s29, 0, s29                                     // 000000005E94: 821D1D80
	v_mfma_f32_16x16x32_fp8_fp8 v[12:15], a[106:107], a[2:3], v[12:15]// 000000005E98: D3F3000C 1C32056A
	v_mfma_f32_16x16x32_fp8_fp8 v[12:15], a[108:109], a[4:5], v[12:15]// 000000005EA0: D3F3000C 1C32096C
	s_add_u32 s32, s4, s32                                     // 000000005EA8: 80202004
	s_addc_u32 s33, 0, s33                                     // 000000005EAC: 82212180
	v_mfma_f32_16x16x32_fp8_fp8 v[12:15], a[110:111], a[6:7], v[12:15]// 000000005EB0: D3F3000C 1C320D6E
	v_fma_f32 v64, v8, v6, v64                                 // 000000005EB8: D1CB0040 05020D08
	v_fma_f32 v65, v9, v6, v65                                 // 000000005EC0: D1CB0041 05060D09
	v_fma_f32 v66, v10, v6, v66                                // 000000005EC8: D1CB0042 050A0D0A
	v_fma_f32 v67, v11, v6, v67                                // 000000005ED0: D1CB0043 050E0D0B
	v_fma_f32 v68, v12, v6, v68                                // 000000005ED8: D1CB0044 05120D0C
	v_fma_f32 v69, v13, v6, v69                                // 000000005EE0: D1CB0045 05160D0D
	v_fma_f32 v70, v14, v6, v70                                // 000000005EE8: D1CB0046 051A0D0E
	v_fma_f32 v71, v15, v6, v71                                // 000000005EF0: D1CB0047 051E0D0F
	buffer_load_dwordx4 a[64:67], v38, s[84:87], 0 offen       // 000000005EF8: E05C1000 80954026
	buffer_load_dwordx4 a[68:71], v38, s[84:87], 0 offen offset:1024// 000000005F00: E05C1400 80954426
	buffer_load_dwordx4 a[72:75], v39, s[84:87], 0 offen       // 000000005F08: E05C1000 80954827
	buffer_load_dwordx4 a[76:79], v39, s[84:87], 0 offen offset:1024// 000000005F10: E05C1400 80954C27
	s_add_u32 s84, s83, s84                                    // 000000005F18: 80545453
	s_addc_u32 s85, 0, s85                                     // 000000005F1C: 82555580
	s_addk_i32 s80, 0x80                                       // 000000005F20: B7500080
	s_cmp_lt_i32 s80, s81                                      // 000000005F24: BF045150
	s_cbranch_scc0 label_0FD4                                  // 000000005F28: BF840286
	s_waitcnt vmcnt(12) lgkmcnt(0)                             // 000000005F2C: BF8C007C
	v_mul_f32_dpp v4, v24, v31 row_newbcast:0 row_mask:0xf bank_mask:0xf// 000000005F30: 0A083EFA FF015018
	v_mfma_f32_16x16x32_fp8_fp8 v[8:11], a[16:17], a[8:9], 0   // 000000005F38: D3F30008 1A021110
	buffer_load_dword v25, v22, s[32:35], 0 offen              // 000000005F40: E0501000 80081916
	buffer_load_dwordx4 a[80:83], v36, s[24:27], 0 offen       // 000000005F48: E05C1000 80865024
	v_mfma_f32_16x16x32_fp8_fp8 v[8:11], a[18:19], a[10:11], v[8:11]// 000000005F50: D3F30008 1C221512
	v_mfma_f32_16x16x32_fp8_fp8 v[8:11], a[20:21], a[12:13], v[8:11]// 000000005F58: D3F30008 1C221914
	v_mfma_f32_16x16x32_fp8_fp8 v[8:11], a[22:23], a[14:15], v[8:11]// 000000005F60: D3F30008 1C221D16
	v_mfma_f32_16x16x32_fp8_fp8 v[12:15], a[24:25], a[8:9], 0  // 000000005F68: D3F3000C 1A021118
	buffer_load_dwordx4 a[84:87], v36, s[24:27], 0 offen offset:1024// 000000005F70: E05C1400 80865424
	v_mfma_f32_16x16x32_fp8_fp8 v[12:15], a[26:27], a[10:11], v[12:15]// 000000005F78: D3F3000C 1C32151A
	v_mfma_f32_16x16x32_fp8_fp8 v[12:15], a[28:29], a[12:13], v[12:15]// 000000005F80: D3F3000C 1C32191C
	v_mfma_f32_16x16x32_fp8_fp8 v[12:15], a[30:31], a[14:15], v[12:15]// 000000005F88: D3F3000C 1C321D1E
	v_fma_f32 v40, v8, v4, v40                                 // 000000005F90: D1CB0028 04A20908
	v_fma_f32 v41, v9, v4, v41                                 // 000000005F98: D1CB0029 04A60909
	v_fma_f32 v42, v10, v4, v42                                // 000000005FA0: D1CB002A 04AA090A
	v_fma_f32 v43, v11, v4, v43                                // 000000005FA8: D1CB002B 04AE090B
	v_mul_f32_dpp v6, v24, v31 row_newbcast:1 row_mask:0xf bank_mask:0xf// 000000005FB0: 0A0C3EFA FF015118
	v_mfma_f32_16x16x32_fp8_fp8 v[8:11], a[32:33], a[8:9], 0   // 000000005FB8: D3F30008 1A021120
	buffer_load_dwordx4 a[88:91], v37, s[24:27], 0 offen       // 000000005FC0: E05C1000 80865825
	v_mfma_f32_16x16x32_fp8_fp8 v[8:11], a[34:35], a[10:11], v[8:11]// 000000005FC8: D3F30008 1C221522
	v_mfma_f32_16x16x32_fp8_fp8 v[8:11], a[36:37], a[12:13], v[8:11]// 000000005FD0: D3F30008 1C221924
	v_mfma_f32_16x16x32_fp8_fp8 v[8:11], a[38:39], a[14:15], v[8:11]// 000000005FD8: D3F30008 1C221D26
	v_fma_f32 v44, v12, v4, v44                                // 000000005FE0: D1CB002C 04B2090C
	v_fma_f32 v45, v13, v4, v45                                // 000000005FE8: D1CB002D 04B6090D
	v_fma_f32 v46, v14, v4, v46                                // 000000005FF0: D1CB002E 04BA090E
	v_fma_f32 v47, v15, v4, v47                                // 000000005FF8: D1CB002F 04BE090F
	v_mfma_f32_16x16x32_fp8_fp8 v[12:15], a[40:41], a[8:9], 0  // 000000006000: D3F3000C 1A021128
	buffer_load_dwordx4 a[92:95], v37, s[24:27], 0 offen offset:1024// 000000006008: E05C1400 80865C25
	v_mfma_f32_16x16x32_fp8_fp8 v[12:15], a[42:43], a[10:11], v[12:15]// 000000006010: D3F3000C 1C32152A
	v_mfma_f32_16x16x32_fp8_fp8 v[12:15], a[44:45], a[12:13], v[12:15]// 000000006018: D3F3000C 1C32192C
	v_mfma_f32_16x16x32_fp8_fp8 v[12:15], a[46:47], a[14:15], v[12:15]// 000000006020: D3F3000C 1C321D2E
	v_fma_f32 v48, v8, v6, v48                                 // 000000006028: D1CB0030 04C20D08
	v_fma_f32 v49, v9, v6, v49                                 // 000000006030: D1CB0031 04C60D09
	v_fma_f32 v50, v10, v6, v50                                // 000000006038: D1CB0032 04CA0D0A
	v_fma_f32 v51, v11, v6, v51                                // 000000006040: D1CB0033 04CE0D0B
	v_fma_f32 v52, v12, v6, v52                                // 000000006048: D1CB0034 04D20D0C
	v_fma_f32 v53, v13, v6, v53                                // 000000006050: D1CB0035 04D60D0D
	v_fma_f32 v54, v14, v6, v54                                // 000000006058: D1CB0036 04DA0D0E
	v_fma_f32 v55, v15, v6, v55                                // 000000006060: D1CB0037 04DE0D0F
	buffer_load_dwordx4 a[96:99], v38, s[24:27], 0 offen       // 000000006068: E05C1000 80866026
	buffer_load_dwordx4 a[100:103], v38, s[24:27], 0 offen offset:1024// 000000006070: E05C1400 80866426
	buffer_load_dwordx4 a[104:107], v39, s[24:27], 0 offen     // 000000006078: E05C1000 80866827
	buffer_load_dwordx4 a[108:111], v39, s[24:27], 0 offen offset:1024// 000000006080: E05C1400 80866C27
	buffer_load_dword v34, s[20:23], 0 offen lds               // 000000006088: E0511000 80050022
	s_add_u32 m0, 0x100, s50                                   // 000000006090: 807C32FF 00000100
	buffer_load_dword v35, s[20:23], 0 offen lds               // 000000006098: E0511000 80050023
	s_add_u32 m0, 0, s48                                       // 0000000060A0: 807C3080
	buffer_load_dword v33, v30, s[28:31], 0 offen              // 0000000060A4: E0501000 8007211E
	s_waitcnt vmcnt(12)                                        // 0000000060AC: BF8C0F7C
	s_barrier                                                  // 0000000060B0: BF8A0000
	v_mul_f32_dpp v4, v27, v31 row_newbcast:0 row_mask:0xf bank_mask:0xf// 0000000060B4: 0A083EFA FF01501B
	v_mfma_f32_16x16x32_fp8_fp8 v[8:11], a[48:49], a[8:9], 0   // 0000000060BC: D3F30008 1A021130
	buffer_load_dword v28, v23, s[32:35], 0 offen              // 0000000060C4: E0501000 80081C17
	buffer_load_dwordx4 a[16:19], v36, s[84:87], 0 offen       // 0000000060CC: E05C1000 80951024
	v_mfma_f32_16x16x32_fp8_fp8 v[8:11], a[50:51], a[10:11], v[8:11]// 0000000060D4: D3F30008 1C221532
	v_mfma_f32_16x16x32_fp8_fp8 v[8:11], a[52:53], a[12:13], v[8:11]// 0000000060DC: D3F30008 1C221934
	ds_read_b128 a[0:3], v2 offset:2176                        // 0000000060E4: DBFE0880 00000002
	ds_read_b128 a[4:7], v2 offset:2240                        // 0000000060EC: DBFE08C0 04000002
	v_mfma_f32_16x16x32_fp8_fp8 v[8:11], a[54:55], a[14:15], v[8:11]// 0000000060F4: D3F30008 1C221D36
	v_mfma_f32_16x16x32_fp8_fp8 v[12:15], a[56:57], a[8:9], 0  // 0000000060FC: D3F3000C 1A021138
	buffer_load_dwordx4 a[20:23], v36, s[84:87], 0 offen offset:1024// 000000006104: E05C1400 80951424
	v_mfma_f32_16x16x32_fp8_fp8 v[12:15], a[58:59], a[10:11], v[12:15]// 00000000610C: D3F3000C 1C32153A
	v_mfma_f32_16x16x32_fp8_fp8 v[12:15], a[60:61], a[12:13], v[12:15]// 000000006114: D3F3000C 1C32193C
	v_mfma_f32_16x16x32_fp8_fp8 v[12:15], a[62:63], a[14:15], v[12:15]// 00000000611C: D3F3000C 1C321D3E
	v_fma_f32 v56, v8, v4, v56                                 // 000000006124: D1CB0038 04E20908
	v_fma_f32 v57, v9, v4, v57                                 // 00000000612C: D1CB0039 04E60909
	v_fma_f32 v58, v10, v4, v58                                // 000000006134: D1CB003A 04EA090A
	v_fma_f32 v59, v11, v4, v59                                // 00000000613C: D1CB003B 04EE090B
	v_mul_f32_dpp v6, v27, v31 row_newbcast:1 row_mask:0xf bank_mask:0xf// 000000006144: 0A0C3EFA FF01511B
	v_mfma_f32_16x16x32_fp8_fp8 v[8:11], a[64:65], a[8:9], 0   // 00000000614C: D3F30008 1A021140
	buffer_load_dwordx4 a[24:27], v37, s[84:87], 0 offen       // 000000006154: E05C1000 80951825
	s_add_u32 s60, 0x180, s80                                  // 00000000615C: 803C50FF 00000180
	s_cmp_lt_u32 s60, s81                                      // 000000006164: BF0A513C
	s_cselect_b32 s57, s57, 0                                  // 000000006168: 85398039
	s_cselect_b32 s3, s3, 0                                    // 00000000616C: 85038003
	v_mfma_f32_16x16x32_fp8_fp8 v[8:11], a[66:67], a[10:11], v[8:11]// 000000006170: D3F30008 1C221542
	s_add_u32 s60, 0x100, s80                                  // 000000006178: 803C50FF 00000100
	s_cmp_lt_u32 s60, s81                                      // 000000006180: BF0A513C
	s_cselect_b32 s58, s58, 0                                  // 000000006184: 853A803A
	v_mfma_f32_16x16x32_fp8_fp8 v[8:11], a[68:69], a[12:13], v[8:11]// 000000006188: D3F30008 1C221944
	s_add_u32 s60, 0x100, s80                                  // 000000006190: 803C50FF 00000100
	s_cmp_lt_u32 s60, s81                                      // 000000006198: BF0A513C
	s_cselect_b32 s83, s83, 0                                  // 00000000619C: 85538053
	s_cselect_b32 s4, s4, 0                                    // 0000000061A0: 85048004
	v_mfma_f32_16x16x32_fp8_fp8 v[8:11], a[70:71], a[14:15], v[8:11]// 0000000061A4: D3F30008 1C221D46
	s_add_u32 s24, s58, s24                                    // 0000000061AC: 8018183A
	s_addc_u32 s25, 0, s25                                     // 0000000061B0: 82191980
	v_fma_f32 v60, v12, v4, v60                                // 0000000061B4: D1CB003C 04F2090C
	v_fma_f32 v61, v13, v4, v61                                // 0000000061BC: D1CB003D 04F6090D
	v_fma_f32 v62, v14, v4, v62                                // 0000000061C4: D1CB003E 04FA090E
	v_fma_f32 v63, v15, v4, v63                                // 0000000061CC: D1CB003F 04FE090F
	v_mfma_f32_16x16x32_fp8_fp8 v[12:15], a[72:73], a[8:9], 0  // 0000000061D4: D3F3000C 1A021148
	buffer_load_dwordx4 a[28:31], v37, s[84:87], 0 offen offset:1024// 0000000061DC: E05C1400 80951C25
	s_add_u32 s20, s57, s20                                    // 0000000061E4: 80141439
	s_addc_u32 s21, 0, s21                                     // 0000000061E8: 82151580
	s_add_u32 s28, s3, s28                                     // 0000000061EC: 801C1C03
	s_addc_u32 s29, 0, s29                                     // 0000000061F0: 821D1D80
	v_mfma_f32_16x16x32_fp8_fp8 v[12:15], a[74:75], a[10:11], v[12:15]// 0000000061F4: D3F3000C 1C32154A
	v_mfma_f32_16x16x32_fp8_fp8 v[12:15], a[76:77], a[12:13], v[12:15]// 0000000061FC: D3F3000C 1C32194C
	s_add_u32 s32, s4, s32                                     // 000000006204: 80202004
	s_addc_u32 s33, 0, s33                                     // 000000006208: 82212180
	v_mfma_f32_16x16x32_fp8_fp8 v[12:15], a[78:79], a[14:15], v[12:15]// 00000000620C: D3F3000C 1C321D4E
	v_fma_f32 v64, v8, v6, v64                                 // 000000006214: D1CB0040 05020D08
	v_fma_f32 v65, v9, v6, v65                                 // 00000000621C: D1CB0041 05060D09
	v_fma_f32 v66, v10, v6, v66                                // 000000006224: D1CB0042 050A0D0A
	v_fma_f32 v67, v11, v6, v67                                // 00000000622C: D1CB0043 050E0D0B
	v_fma_f32 v68, v12, v6, v68                                // 000000006234: D1CB0044 05120D0C
	v_fma_f32 v69, v13, v6, v69                                // 00000000623C: D1CB0045 05160D0D
	v_fma_f32 v70, v14, v6, v70                                // 000000006244: D1CB0046 051A0D0E
	v_fma_f32 v71, v15, v6, v71                                // 00000000624C: D1CB0047 051E0D0F
	buffer_load_dwordx4 a[32:35], v38, s[84:87], 0 offen       // 000000006254: E05C1000 80952026
	buffer_load_dwordx4 a[36:39], v38, s[84:87], 0 offen offset:1024// 00000000625C: E05C1400 80952426
	buffer_load_dwordx4 a[40:43], v39, s[84:87], 0 offen       // 000000006264: E05C1000 80952827
	buffer_load_dwordx4 a[44:47], v39, s[84:87], 0 offen offset:1024// 00000000626C: E05C1400 80952C27
	s_add_u32 s84, s83, s84                                    // 000000006274: 80545453
	s_addc_u32 s85, 0, s85                                     // 000000006278: 82555580
	s_addk_i32 s80, 0x80                                       // 00000000627C: B7500080
	s_cmp_lt_i32 s80, s81                                      // 000000006280: BF045150
	s_cbranch_scc0 label_0FD4                                  // 000000006284: BF8401AF
	s_waitcnt vmcnt(12) lgkmcnt(0)                             // 000000006288: BF8C007C
	v_mul_f32_dpp v4, v25, v32 row_newbcast:0 row_mask:0xf bank_mask:0xf// 00000000628C: 0A0840FA FF015019
	v_mfma_f32_16x16x32_fp8_fp8 v[8:11], a[80:81], a[0:1], 0   // 000000006294: D3F30008 1A020150
	buffer_load_dword v26, v22, s[32:35], 0 offen              // 00000000629C: E0501000 80081A16
	buffer_load_dwordx4 a[48:51], v36, s[24:27], 0 offen       // 0000000062A4: E05C1000 80863024
	v_mfma_f32_16x16x32_fp8_fp8 v[8:11], a[82:83], a[2:3], v[8:11]// 0000000062AC: D3F30008 1C220552
	v_mfma_f32_16x16x32_fp8_fp8 v[8:11], a[84:85], a[4:5], v[8:11]// 0000000062B4: D3F30008 1C220954
	v_mfma_f32_16x16x32_fp8_fp8 v[8:11], a[86:87], a[6:7], v[8:11]// 0000000062BC: D3F30008 1C220D56
	v_mfma_f32_16x16x32_fp8_fp8 v[12:15], a[88:89], a[0:1], 0  // 0000000062C4: D3F3000C 1A020158
	buffer_load_dwordx4 a[52:55], v36, s[24:27], 0 offen offset:1024// 0000000062CC: E05C1400 80863424
	v_mfma_f32_16x16x32_fp8_fp8 v[12:15], a[90:91], a[2:3], v[12:15]// 0000000062D4: D3F3000C 1C32055A
	v_mfma_f32_16x16x32_fp8_fp8 v[12:15], a[92:93], a[4:5], v[12:15]// 0000000062DC: D3F3000C 1C32095C
	v_mfma_f32_16x16x32_fp8_fp8 v[12:15], a[94:95], a[6:7], v[12:15]// 0000000062E4: D3F3000C 1C320D5E
	v_fma_f32 v40, v8, v4, v40                                 // 0000000062EC: D1CB0028 04A20908
	v_fma_f32 v41, v9, v4, v41                                 // 0000000062F4: D1CB0029 04A60909
	v_fma_f32 v42, v10, v4, v42                                // 0000000062FC: D1CB002A 04AA090A
	v_fma_f32 v43, v11, v4, v43                                // 000000006304: D1CB002B 04AE090B
	v_mul_f32_dpp v6, v25, v32 row_newbcast:1 row_mask:0xf bank_mask:0xf// 00000000630C: 0A0C40FA FF015119
	v_mfma_f32_16x16x32_fp8_fp8 v[8:11], a[96:97], a[0:1], 0   // 000000006314: D3F30008 1A020160
	buffer_load_dwordx4 a[56:59], v37, s[24:27], 0 offen       // 00000000631C: E05C1000 80863825
	v_mfma_f32_16x16x32_fp8_fp8 v[8:11], a[98:99], a[2:3], v[8:11]// 000000006324: D3F30008 1C220562
	v_mfma_f32_16x16x32_fp8_fp8 v[8:11], a[100:101], a[4:5], v[8:11]// 00000000632C: D3F30008 1C220964
	v_mfma_f32_16x16x32_fp8_fp8 v[8:11], a[102:103], a[6:7], v[8:11]// 000000006334: D3F30008 1C220D66
	v_fma_f32 v44, v12, v4, v44                                // 00000000633C: D1CB002C 04B2090C
	v_fma_f32 v45, v13, v4, v45                                // 000000006344: D1CB002D 04B6090D
	v_fma_f32 v46, v14, v4, v46                                // 00000000634C: D1CB002E 04BA090E
	v_fma_f32 v47, v15, v4, v47                                // 000000006354: D1CB002F 04BE090F
	v_mfma_f32_16x16x32_fp8_fp8 v[12:15], a[104:105], a[0:1], 0// 00000000635C: D3F3000C 1A020168
	buffer_load_dwordx4 a[60:63], v37, s[24:27], 0 offen offset:1024// 000000006364: E05C1400 80863C25
	v_mfma_f32_16x16x32_fp8_fp8 v[12:15], a[106:107], a[2:3], v[12:15]// 00000000636C: D3F3000C 1C32056A
	v_mfma_f32_16x16x32_fp8_fp8 v[12:15], a[108:109], a[4:5], v[12:15]// 000000006374: D3F3000C 1C32096C
	v_mfma_f32_16x16x32_fp8_fp8 v[12:15], a[110:111], a[6:7], v[12:15]// 00000000637C: D3F3000C 1C320D6E
	v_fma_f32 v48, v8, v6, v48                                 // 000000006384: D1CB0030 04C20D08
	v_fma_f32 v49, v9, v6, v49                                 // 00000000638C: D1CB0031 04C60D09
	v_fma_f32 v50, v10, v6, v50                                // 000000006394: D1CB0032 04CA0D0A
	v_fma_f32 v51, v11, v6, v51                                // 00000000639C: D1CB0033 04CE0D0B
	v_fma_f32 v52, v12, v6, v52                                // 0000000063A4: D1CB0034 04D20D0C
	v_fma_f32 v53, v13, v6, v53                                // 0000000063AC: D1CB0035 04D60D0D
	v_fma_f32 v54, v14, v6, v54                                // 0000000063B4: D1CB0036 04DA0D0E
	v_fma_f32 v55, v15, v6, v55                                // 0000000063BC: D1CB0037 04DE0D0F
	buffer_load_dwordx4 a[64:67], v38, s[24:27], 0 offen       // 0000000063C4: E05C1000 80864026
	buffer_load_dwordx4 a[68:71], v38, s[24:27], 0 offen offset:1024// 0000000063CC: E05C1400 80864426
	buffer_load_dwordx4 a[72:75], v39, s[24:27], 0 offen       // 0000000063D4: E05C1000 80864827
	buffer_load_dwordx4 a[76:79], v39, s[24:27], 0 offen offset:1024// 0000000063DC: E05C1400 80864C27
	buffer_load_dword v34, s[20:23], 0 offen lds               // 0000000063E4: E0511000 80050022
	s_add_u32 m0, 0x100, s48                                   // 0000000063EC: 807C30FF 00000100
	buffer_load_dword v35, s[20:23], 0 offen lds               // 0000000063F4: E0511000 80050023
	s_add_u32 m0, 0, s49                                       // 0000000063FC: 807C3180
	buffer_load_dword v31, v30, s[28:31], 0 offen              // 000000006400: E0501000 80071F1E
	s_waitcnt vmcnt(12)                                        // 000000006408: BF8C0F7C
	s_barrier                                                  // 00000000640C: BF8A0000
	v_mul_f32_dpp v4, v28, v32 row_newbcast:0 row_mask:0xf bank_mask:0xf// 000000006410: 0A0840FA FF01501C
	v_mfma_f32_16x16x32_fp8_fp8 v[8:11], a[16:17], a[0:1], 0   // 000000006418: D3F30008 1A020110
	buffer_load_dword v29, v23, s[32:35], 0 offen              // 000000006420: E0501000 80081D17
	buffer_load_dwordx4 a[80:83], v36, s[84:87], 0 offen       // 000000006428: E05C1000 80955024
	v_mfma_f32_16x16x32_fp8_fp8 v[8:11], a[18:19], a[2:3], v[8:11]// 000000006430: D3F30008 1C220512
	v_mfma_f32_16x16x32_fp8_fp8 v[8:11], a[20:21], a[4:5], v[8:11]// 000000006438: D3F30008 1C220914
	ds_read_b128 a[8:11], v2 offset:4352                       // 000000006440: DBFE1100 08000002
	ds_read_b128 a[12:15], v2 offset:4416                      // 000000006448: DBFE1140 0C000002
	v_mfma_f32_16x16x32_fp8_fp8 v[8:11], a[22:23], a[6:7], v[8:11]// 000000006450: D3F30008 1C220D16
	v_mfma_f32_16x16x32_fp8_fp8 v[12:15], a[24:25], a[0:1], 0  // 000000006458: D3F3000C 1A020118
	buffer_load_dwordx4 a[84:87], v36, s[84:87], 0 offen offset:1024// 000000006460: E05C1400 80955424
	v_mfma_f32_16x16x32_fp8_fp8 v[12:15], a[26:27], a[2:3], v[12:15]// 000000006468: D3F3000C 1C32051A
	v_mfma_f32_16x16x32_fp8_fp8 v[12:15], a[28:29], a[4:5], v[12:15]// 000000006470: D3F3000C 1C32091C
	v_mfma_f32_16x16x32_fp8_fp8 v[12:15], a[30:31], a[6:7], v[12:15]// 000000006478: D3F3000C 1C320D1E
	v_fma_f32 v56, v8, v4, v56                                 // 000000006480: D1CB0038 04E20908
	v_fma_f32 v57, v9, v4, v57                                 // 000000006488: D1CB0039 04E60909
	v_fma_f32 v58, v10, v4, v58                                // 000000006490: D1CB003A 04EA090A
	v_fma_f32 v59, v11, v4, v59                                // 000000006498: D1CB003B 04EE090B
	v_mul_f32_dpp v6, v28, v32 row_newbcast:1 row_mask:0xf bank_mask:0xf// 0000000064A0: 0A0C40FA FF01511C
	v_mfma_f32_16x16x32_fp8_fp8 v[8:11], a[32:33], a[0:1], 0   // 0000000064A8: D3F30008 1A020120
	buffer_load_dwordx4 a[88:91], v37, s[84:87], 0 offen       // 0000000064B0: E05C1000 80955825
	s_add_u32 s60, 0x180, s80                                  // 0000000064B8: 803C50FF 00000180
	s_cmp_lt_u32 s60, s81                                      // 0000000064C0: BF0A513C
	s_cselect_b32 s57, s57, 0                                  // 0000000064C4: 85398039
	s_cselect_b32 s3, s3, 0                                    // 0000000064C8: 85038003
	v_mfma_f32_16x16x32_fp8_fp8 v[8:11], a[34:35], a[2:3], v[8:11]// 0000000064CC: D3F30008 1C220522
	s_add_u32 s60, 0x100, s80                                  // 0000000064D4: 803C50FF 00000100
	s_cmp_lt_u32 s60, s81                                      // 0000000064DC: BF0A513C
	s_cselect_b32 s58, s58, 0                                  // 0000000064E0: 853A803A
	v_mfma_f32_16x16x32_fp8_fp8 v[8:11], a[36:37], a[4:5], v[8:11]// 0000000064E4: D3F30008 1C220924
	s_add_u32 s60, 0x100, s80                                  // 0000000064EC: 803C50FF 00000100
	s_cmp_lt_u32 s60, s81                                      // 0000000064F4: BF0A513C
	s_cselect_b32 s83, s83, 0                                  // 0000000064F8: 85538053
	s_cselect_b32 s4, s4, 0                                    // 0000000064FC: 85048004
	v_mfma_f32_16x16x32_fp8_fp8 v[8:11], a[38:39], a[6:7], v[8:11]// 000000006500: D3F30008 1C220D26
	s_add_u32 s24, s58, s24                                    // 000000006508: 8018183A
	s_addc_u32 s25, 0, s25                                     // 00000000650C: 82191980
	v_fma_f32 v60, v12, v4, v60                                // 000000006510: D1CB003C 04F2090C
	v_fma_f32 v61, v13, v4, v61                                // 000000006518: D1CB003D 04F6090D
	v_fma_f32 v62, v14, v4, v62                                // 000000006520: D1CB003E 04FA090E
	v_fma_f32 v63, v15, v4, v63                                // 000000006528: D1CB003F 04FE090F
	v_mfma_f32_16x16x32_fp8_fp8 v[12:15], a[40:41], a[0:1], 0  // 000000006530: D3F3000C 1A020128
	buffer_load_dwordx4 a[92:95], v37, s[84:87], 0 offen offset:1024// 000000006538: E05C1400 80955C25
	s_add_u32 s20, s57, s20                                    // 000000006540: 80141439
	s_addc_u32 s21, 0, s21                                     // 000000006544: 82151580
	s_add_u32 s28, s3, s28                                     // 000000006548: 801C1C03
	s_addc_u32 s29, 0, s29                                     // 00000000654C: 821D1D80
	v_mfma_f32_16x16x32_fp8_fp8 v[12:15], a[42:43], a[2:3], v[12:15]// 000000006550: D3F3000C 1C32052A
	v_mfma_f32_16x16x32_fp8_fp8 v[12:15], a[44:45], a[4:5], v[12:15]// 000000006558: D3F3000C 1C32092C
	s_add_u32 s32, s4, s32                                     // 000000006560: 80202004
	s_addc_u32 s33, 0, s33                                     // 000000006564: 82212180
	v_mfma_f32_16x16x32_fp8_fp8 v[12:15], a[46:47], a[6:7], v[12:15]// 000000006568: D3F3000C 1C320D2E
	v_fma_f32 v64, v8, v6, v64                                 // 000000006570: D1CB0040 05020D08
	v_fma_f32 v65, v9, v6, v65                                 // 000000006578: D1CB0041 05060D09
	v_fma_f32 v66, v10, v6, v66                                // 000000006580: D1CB0042 050A0D0A
	v_fma_f32 v67, v11, v6, v67                                // 000000006588: D1CB0043 050E0D0B
	v_fma_f32 v68, v12, v6, v68                                // 000000006590: D1CB0044 05120D0C
	v_fma_f32 v69, v13, v6, v69                                // 000000006598: D1CB0045 05160D0D
	v_fma_f32 v70, v14, v6, v70                                // 0000000065A0: D1CB0046 051A0D0E
	v_fma_f32 v71, v15, v6, v71                                // 0000000065A8: D1CB0047 051E0D0F
	buffer_load_dwordx4 a[96:99], v38, s[84:87], 0 offen       // 0000000065B0: E05C1000 80956026
	buffer_load_dwordx4 a[100:103], v38, s[84:87], 0 offen offset:1024// 0000000065B8: E05C1400 80956426
	buffer_load_dwordx4 a[104:107], v39, s[84:87], 0 offen     // 0000000065C0: E05C1000 80956827
	buffer_load_dwordx4 a[108:111], v39, s[84:87], 0 offen offset:1024// 0000000065C8: E05C1400 80956C27
	s_add_u32 s84, s83, s84                                    // 0000000065D0: 80545453
	s_addc_u32 s85, 0, s85                                     // 0000000065D4: 82555580
	s_addk_i32 s80, 0x80                                       // 0000000065D8: B7500080
	s_cmp_lt_i32 s80, s81                                      // 0000000065DC: BF045150
	s_cbranch_scc0 label_0FD4                                  // 0000000065E0: BF8400D8
	s_waitcnt vmcnt(12) lgkmcnt(0)                             // 0000000065E4: BF8C007C
	v_mul_f32_dpp v4, v26, v33 row_newbcast:0 row_mask:0xf bank_mask:0xf// 0000000065E8: 0A0842FA FF01501A
	v_mfma_f32_16x16x32_fp8_fp8 v[8:11], a[48:49], a[8:9], 0   // 0000000065F0: D3F30008 1A021130
	buffer_load_dword v24, v22, s[32:35], 0 offen              // 0000000065F8: E0501000 80081816
	buffer_load_dwordx4 a[16:19], v36, s[24:27], 0 offen       // 000000006600: E05C1000 80861024
	v_mfma_f32_16x16x32_fp8_fp8 v[8:11], a[50:51], a[10:11], v[8:11]// 000000006608: D3F30008 1C221532
	v_mfma_f32_16x16x32_fp8_fp8 v[8:11], a[52:53], a[12:13], v[8:11]// 000000006610: D3F30008 1C221934
	v_mfma_f32_16x16x32_fp8_fp8 v[8:11], a[54:55], a[14:15], v[8:11]// 000000006618: D3F30008 1C221D36
	v_mfma_f32_16x16x32_fp8_fp8 v[12:15], a[56:57], a[8:9], 0  // 000000006620: D3F3000C 1A021138
	buffer_load_dwordx4 a[20:23], v36, s[24:27], 0 offen offset:1024// 000000006628: E05C1400 80861424
	v_mfma_f32_16x16x32_fp8_fp8 v[12:15], a[58:59], a[10:11], v[12:15]// 000000006630: D3F3000C 1C32153A
	v_mfma_f32_16x16x32_fp8_fp8 v[12:15], a[60:61], a[12:13], v[12:15]// 000000006638: D3F3000C 1C32193C
	v_mfma_f32_16x16x32_fp8_fp8 v[12:15], a[62:63], a[14:15], v[12:15]// 000000006640: D3F3000C 1C321D3E
	v_fma_f32 v40, v8, v4, v40                                 // 000000006648: D1CB0028 04A20908
	v_fma_f32 v41, v9, v4, v41                                 // 000000006650: D1CB0029 04A60909
	v_fma_f32 v42, v10, v4, v42                                // 000000006658: D1CB002A 04AA090A
	v_fma_f32 v43, v11, v4, v43                                // 000000006660: D1CB002B 04AE090B
	v_mul_f32_dpp v6, v26, v33 row_newbcast:1 row_mask:0xf bank_mask:0xf// 000000006668: 0A0C42FA FF01511A
	v_mfma_f32_16x16x32_fp8_fp8 v[8:11], a[64:65], a[8:9], 0   // 000000006670: D3F30008 1A021140
	buffer_load_dwordx4 a[24:27], v37, s[24:27], 0 offen       // 000000006678: E05C1000 80861825
	v_mfma_f32_16x16x32_fp8_fp8 v[8:11], a[66:67], a[10:11], v[8:11]// 000000006680: D3F30008 1C221542
	v_mfma_f32_16x16x32_fp8_fp8 v[8:11], a[68:69], a[12:13], v[8:11]// 000000006688: D3F30008 1C221944
	v_mfma_f32_16x16x32_fp8_fp8 v[8:11], a[70:71], a[14:15], v[8:11]// 000000006690: D3F30008 1C221D46
	v_fma_f32 v44, v12, v4, v44                                // 000000006698: D1CB002C 04B2090C
	v_fma_f32 v45, v13, v4, v45                                // 0000000066A0: D1CB002D 04B6090D
	v_fma_f32 v46, v14, v4, v46                                // 0000000066A8: D1CB002E 04BA090E
	v_fma_f32 v47, v15, v4, v47                                // 0000000066B0: D1CB002F 04BE090F
	v_mfma_f32_16x16x32_fp8_fp8 v[12:15], a[72:73], a[8:9], 0  // 0000000066B8: D3F3000C 1A021148
	buffer_load_dwordx4 a[28:31], v37, s[24:27], 0 offen offset:1024// 0000000066C0: E05C1400 80861C25
	v_mfma_f32_16x16x32_fp8_fp8 v[12:15], a[74:75], a[10:11], v[12:15]// 0000000066C8: D3F3000C 1C32154A
	v_mfma_f32_16x16x32_fp8_fp8 v[12:15], a[76:77], a[12:13], v[12:15]// 0000000066D0: D3F3000C 1C32194C
	v_mfma_f32_16x16x32_fp8_fp8 v[12:15], a[78:79], a[14:15], v[12:15]// 0000000066D8: D3F3000C 1C321D4E
	v_fma_f32 v48, v8, v6, v48                                 // 0000000066E0: D1CB0030 04C20D08
	v_fma_f32 v49, v9, v6, v49                                 // 0000000066E8: D1CB0031 04C60D09
	v_fma_f32 v50, v10, v6, v50                                // 0000000066F0: D1CB0032 04CA0D0A
	v_fma_f32 v51, v11, v6, v51                                // 0000000066F8: D1CB0033 04CE0D0B
	v_fma_f32 v52, v12, v6, v52                                // 000000006700: D1CB0034 04D20D0C
	v_fma_f32 v53, v13, v6, v53                                // 000000006708: D1CB0035 04D60D0D
	v_fma_f32 v54, v14, v6, v54                                // 000000006710: D1CB0036 04DA0D0E
	v_fma_f32 v55, v15, v6, v55                                // 000000006718: D1CB0037 04DE0D0F
	buffer_load_dwordx4 a[32:35], v38, s[24:27], 0 offen       // 000000006720: E05C1000 80862026
	buffer_load_dwordx4 a[36:39], v38, s[24:27], 0 offen offset:1024// 000000006728: E05C1400 80862426
	buffer_load_dwordx4 a[40:43], v39, s[24:27], 0 offen       // 000000006730: E05C1000 80862827
	buffer_load_dwordx4 a[44:47], v39, s[24:27], 0 offen offset:1024// 000000006738: E05C1400 80862C27
	buffer_load_dword v34, s[20:23], 0 offen lds               // 000000006740: E0511000 80050022
	s_add_u32 m0, 0x100, s49                                   // 000000006748: 807C31FF 00000100
	buffer_load_dword v35, s[20:23], 0 offen lds               // 000000006750: E0511000 80050023
	s_add_u32 m0, 0, s50                                       // 000000006758: 807C3280
	buffer_load_dword v32, v30, s[28:31], 0 offen              // 00000000675C: E0501000 8007201E
	s_waitcnt vmcnt(12)                                        // 000000006764: BF8C0F7C
	s_barrier                                                  // 000000006768: BF8A0000
	v_mul_f32_dpp v4, v29, v33 row_newbcast:0 row_mask:0xf bank_mask:0xf// 00000000676C: 0A0842FA FF01501D
	v_mfma_f32_16x16x32_fp8_fp8 v[8:11], a[80:81], a[8:9], 0   // 000000006774: D3F30008 1A021150
	buffer_load_dword v27, v23, s[32:35], 0 offen              // 00000000677C: E0501000 80081B17
	buffer_load_dwordx4 a[48:51], v36, s[84:87], 0 offen       // 000000006784: E05C1000 80953024
	v_mfma_f32_16x16x32_fp8_fp8 v[8:11], a[82:83], a[10:11], v[8:11]// 00000000678C: D3F30008 1C221552
	v_mfma_f32_16x16x32_fp8_fp8 v[8:11], a[84:85], a[12:13], v[8:11]// 000000006794: D3F30008 1C221954
	ds_read_b128 a[0:3], v2                                    // 00000000679C: DBFE0000 00000002
	ds_read_b128 a[4:7], v2 offset:64                          // 0000000067A4: DBFE0040 04000002
	v_mfma_f32_16x16x32_fp8_fp8 v[8:11], a[86:87], a[14:15], v[8:11]// 0000000067AC: D3F30008 1C221D56
	v_mfma_f32_16x16x32_fp8_fp8 v[12:15], a[88:89], a[8:9], 0  // 0000000067B4: D3F3000C 1A021158
	buffer_load_dwordx4 a[52:55], v36, s[84:87], 0 offen offset:1024// 0000000067BC: E05C1400 80953424
	v_mfma_f32_16x16x32_fp8_fp8 v[12:15], a[90:91], a[10:11], v[12:15]// 0000000067C4: D3F3000C 1C32155A
	v_mfma_f32_16x16x32_fp8_fp8 v[12:15], a[92:93], a[12:13], v[12:15]// 0000000067CC: D3F3000C 1C32195C
	v_mfma_f32_16x16x32_fp8_fp8 v[12:15], a[94:95], a[14:15], v[12:15]// 0000000067D4: D3F3000C 1C321D5E
	v_fma_f32 v56, v8, v4, v56                                 // 0000000067DC: D1CB0038 04E20908
	v_fma_f32 v57, v9, v4, v57                                 // 0000000067E4: D1CB0039 04E60909
	v_fma_f32 v58, v10, v4, v58                                // 0000000067EC: D1CB003A 04EA090A
	v_fma_f32 v59, v11, v4, v59                                // 0000000067F4: D1CB003B 04EE090B
	v_mul_f32_dpp v6, v29, v33 row_newbcast:1 row_mask:0xf bank_mask:0xf// 0000000067FC: 0A0C42FA FF01511D
	v_mfma_f32_16x16x32_fp8_fp8 v[8:11], a[96:97], a[8:9], 0   // 000000006804: D3F30008 1A021160
	buffer_load_dwordx4 a[56:59], v37, s[84:87], 0 offen       // 00000000680C: E05C1000 80953825
	s_add_u32 s60, 0x180, s80                                  // 000000006814: 803C50FF 00000180
	s_cmp_lt_u32 s60, s81                                      // 00000000681C: BF0A513C
	s_cselect_b32 s57, s57, 0                                  // 000000006820: 85398039
	s_cselect_b32 s3, s3, 0                                    // 000000006824: 85038003
	v_mfma_f32_16x16x32_fp8_fp8 v[8:11], a[98:99], a[10:11], v[8:11]// 000000006828: D3F30008 1C221562
	s_add_u32 s60, 0x100, s80                                  // 000000006830: 803C50FF 00000100
	s_cmp_lt_u32 s60, s81                                      // 000000006838: BF0A513C
	s_cselect_b32 s58, s58, 0                                  // 00000000683C: 853A803A
	v_mfma_f32_16x16x32_fp8_fp8 v[8:11], a[100:101], a[12:13], v[8:11]// 000000006840: D3F30008 1C221964
	s_add_u32 s60, 0x100, s80                                  // 000000006848: 803C50FF 00000100
	s_cmp_lt_u32 s60, s81                                      // 000000006850: BF0A513C
	s_cselect_b32 s83, s83, 0                                  // 000000006854: 85538053
	s_cselect_b32 s4, s4, 0                                    // 000000006858: 85048004
	v_mfma_f32_16x16x32_fp8_fp8 v[8:11], a[102:103], a[14:15], v[8:11]// 00000000685C: D3F30008 1C221D66
	s_add_u32 s24, s58, s24                                    // 000000006864: 8018183A
	s_addc_u32 s25, 0, s25                                     // 000000006868: 82191980
	v_fma_f32 v60, v12, v4, v60                                // 00000000686C: D1CB003C 04F2090C
	v_fma_f32 v61, v13, v4, v61                                // 000000006874: D1CB003D 04F6090D
	v_fma_f32 v62, v14, v4, v62                                // 00000000687C: D1CB003E 04FA090E
	v_fma_f32 v63, v15, v4, v63                                // 000000006884: D1CB003F 04FE090F
	v_mfma_f32_16x16x32_fp8_fp8 v[12:15], a[104:105], a[8:9], 0// 00000000688C: D3F3000C 1A021168
	buffer_load_dwordx4 a[60:63], v37, s[84:87], 0 offen offset:1024// 000000006894: E05C1400 80953C25
	s_add_u32 s20, s57, s20                                    // 00000000689C: 80141439
	s_addc_u32 s21, 0, s21                                     // 0000000068A0: 82151580
	s_add_u32 s28, s3, s28                                     // 0000000068A4: 801C1C03
	s_addc_u32 s29, 0, s29                                     // 0000000068A8: 821D1D80
	v_mfma_f32_16x16x32_fp8_fp8 v[12:15], a[106:107], a[10:11], v[12:15]// 0000000068AC: D3F3000C 1C32156A
	v_mfma_f32_16x16x32_fp8_fp8 v[12:15], a[108:109], a[12:13], v[12:15]// 0000000068B4: D3F3000C 1C32196C
	s_add_u32 s32, s4, s32                                     // 0000000068BC: 80202004
	s_addc_u32 s33, 0, s33                                     // 0000000068C0: 82212180
	v_mfma_f32_16x16x32_fp8_fp8 v[12:15], a[110:111], a[14:15], v[12:15]// 0000000068C4: D3F3000C 1C321D6E
	v_fma_f32 v64, v8, v6, v64                                 // 0000000068CC: D1CB0040 05020D08
	v_fma_f32 v65, v9, v6, v65                                 // 0000000068D4: D1CB0041 05060D09
	v_fma_f32 v66, v10, v6, v66                                // 0000000068DC: D1CB0042 050A0D0A
	v_fma_f32 v67, v11, v6, v67                                // 0000000068E4: D1CB0043 050E0D0B
	v_fma_f32 v68, v12, v6, v68                                // 0000000068EC: D1CB0044 05120D0C
	v_fma_f32 v69, v13, v6, v69                                // 0000000068F4: D1CB0045 05160D0D
	v_fma_f32 v70, v14, v6, v70                                // 0000000068FC: D1CB0046 051A0D0E
	v_fma_f32 v71, v15, v6, v71                                // 000000006904: D1CB0047 051E0D0F
	buffer_load_dwordx4 a[64:67], v38, s[84:87], 0 offen       // 00000000690C: E05C1000 80954026
	buffer_load_dwordx4 a[68:71], v38, s[84:87], 0 offen offset:1024// 000000006914: E05C1400 80954426
	buffer_load_dwordx4 a[72:75], v39, s[84:87], 0 offen       // 00000000691C: E05C1000 80954827
	buffer_load_dwordx4 a[76:79], v39, s[84:87], 0 offen offset:1024// 000000006924: E05C1400 80954C27
	s_add_u32 s84, s83, s84                                    // 00000000692C: 80545453
	s_addc_u32 s85, 0, s85                                     // 000000006930: 82555580
	s_addk_i32 s80, 0x80                                       // 000000006934: B7500080
	s_cmp_lt_i32 s80, s81                                      // 000000006938: BF045150
	s_cbranch_scc0 label_0FD4                                  // 00000000693C: BF840001
	s_branch label_0AC9                                        // 000000006940: BF82FAF5

0000000000006944 <label_0FD4>:
	s_cmp_eq_u32 s88, 0                                        // 000000006944: BF068058
	s_cbranch_scc0 label_1263                                  // 000000006948: BF84028D
	s_cmp_eq_u32 s89, 0                                        // 00000000694C: BF068059
	s_cbranch_scc1 label_107D                                  // 000000006950: BF8500A5
	v_mov_b32_e32 v8, v1                                       // 000000006954: 7E100301
	v_mov_b32_e32 v9, v1                                       // 000000006958: 7E120301
	s_mov_b32 s60, s6                                          // 00000000695C: BEBC0006
	s_mov_b32 s61, s6                                          // 000000006960: BEBD0006
	v_pk_mul_f32 v[4:5], v[40:41], v[40:41]                    // 000000006964: D3B14004 18025128
	v_pk_mul_f32 v[6:7], v[42:43], v[42:43]                    // 00000000696C: D3B14006 1802552A
	v_pk_fma_f32 v[4:5], v[4:5], s[78:79], v[8:9]              // 000000006974: D3B04004 1C209D04
	v_pk_fma_f32 v[6:7], v[6:7], s[78:79], v[8:9]              // 00000000697C: D3B04006 1C209D06
	v_pk_mul_f32 v[4:5], v[4:5], v[40:41]                      // 000000006984: D3B14004 18025104
	v_pk_mul_f32 v[6:7], v[6:7], v[42:43]                      // 00000000698C: D3B14006 18025506
	v_pk_mul_f32 v[4:5], v[4:5], s[60:61]                      // 000000006994: D3B14004 18007904
	v_pk_mul_f32 v[6:7], v[6:7], s[60:61]                      // 00000000699C: D3B14006 18007906
	v_exp_f32_e32 v4, v4                                       // 0000000069A4: 7E084104
	v_exp_f32_e32 v5, v5                                       // 0000000069A8: 7E0A4105
	v_exp_f32_e32 v6, v6                                       // 0000000069AC: 7E0C4106
	v_exp_f32_e32 v7, v7                                       // 0000000069B0: 7E0E4107
	v_add_f32_e64 v4, v4, 1.0                                  // 0000000069B4: D1010004 0001E504
	v_add_f32_e64 v5, v5, 1.0                                  // 0000000069BC: D1010005 0001E505
	v_add_f32_e64 v6, v6, 1.0                                  // 0000000069C4: D1010006 0001E506
	v_add_f32_e64 v7, v7, 1.0                                  // 0000000069CC: D1010007 0001E507
	v_rcp_f32_e32 v4, v4                                       // 0000000069D4: 7E084504
	v_rcp_f32_e32 v5, v5                                       // 0000000069D8: 7E0A4505
	v_rcp_f32_e32 v6, v6                                       // 0000000069DC: 7E0C4506
	v_rcp_f32_e32 v7, v7                                       // 0000000069E0: 7E0E4507
	v_mul_f32_e32 v40, v40, v4                                 // 0000000069E4: 0A500928
	v_mul_f32_e32 v41, v41, v5                                 // 0000000069E8: 0A520B29
	v_mul_f32_e32 v42, v42, v6                                 // 0000000069EC: 0A540D2A
	v_mul_f32_e32 v43, v43, v7                                 // 0000000069F0: 0A560F2B
	v_mul_f32_e32 v40, v40, v56                                // 0000000069F4: 0A507128
	v_mul_f32_e32 v41, v41, v57                                // 0000000069F8: 0A527329
	v_mul_f32_e32 v42, v42, v58                                // 0000000069FC: 0A54752A
	v_mul_f32_e32 v43, v43, v59                                // 000000006A00: 0A56772B
	v_pk_mul_f32 v[4:5], v[44:45], v[44:45]                    // 000000006A04: D3B14004 1802592C
	v_pk_mul_f32 v[6:7], v[46:47], v[46:47]                    // 000000006A0C: D3B14006 18025D2E
	v_pk_fma_f32 v[4:5], v[4:5], s[78:79], v[8:9]              // 000000006A14: D3B04004 1C209D04
	v_pk_fma_f32 v[6:7], v[6:7], s[78:79], v[8:9]              // 000000006A1C: D3B04006 1C209D06
	v_pk_mul_f32 v[4:5], v[4:5], v[44:45]                      // 000000006A24: D3B14004 18025904
	v_pk_mul_f32 v[6:7], v[6:7], v[46:47]                      // 000000006A2C: D3B14006 18025D06
	v_pk_mul_f32 v[4:5], v[4:5], s[60:61]                      // 000000006A34: D3B14004 18007904
	v_pk_mul_f32 v[6:7], v[6:7], s[60:61]                      // 000000006A3C: D3B14006 18007906
	v_exp_f32_e32 v4, v4                                       // 000000006A44: 7E084104
	v_exp_f32_e32 v5, v5                                       // 000000006A48: 7E0A4105
	v_exp_f32_e32 v6, v6                                       // 000000006A4C: 7E0C4106
	v_exp_f32_e32 v7, v7                                       // 000000006A50: 7E0E4107
	v_add_f32_e64 v4, v4, 1.0                                  // 000000006A54: D1010004 0001E504
	v_add_f32_e64 v5, v5, 1.0                                  // 000000006A5C: D1010005 0001E505
	v_add_f32_e64 v6, v6, 1.0                                  // 000000006A64: D1010006 0001E506
	v_add_f32_e64 v7, v7, 1.0                                  // 000000006A6C: D1010007 0001E507
	v_rcp_f32_e32 v4, v4                                       // 000000006A74: 7E084504
	v_rcp_f32_e32 v5, v5                                       // 000000006A78: 7E0A4505
	v_rcp_f32_e32 v6, v6                                       // 000000006A7C: 7E0C4506
	v_rcp_f32_e32 v7, v7                                       // 000000006A80: 7E0E4507
	v_mul_f32_e32 v44, v44, v4                                 // 000000006A84: 0A58092C
	v_mul_f32_e32 v45, v45, v5                                 // 000000006A88: 0A5A0B2D
	v_mul_f32_e32 v46, v46, v6                                 // 000000006A8C: 0A5C0D2E
	v_mul_f32_e32 v47, v47, v7                                 // 000000006A90: 0A5E0F2F
	v_mul_f32_e32 v44, v44, v60                                // 000000006A94: 0A58792C
	v_mul_f32_e32 v45, v45, v61                                // 000000006A98: 0A5A7B2D
	v_mul_f32_e32 v46, v46, v62                                // 000000006A9C: 0A5C7D2E
	v_mul_f32_e32 v47, v47, v63                                // 000000006AA0: 0A5E7F2F
	v_pk_mul_f32 v[4:5], v[48:49], v[48:49]                    // 000000006AA4: D3B14004 18026130
	v_pk_mul_f32 v[6:7], v[50:51], v[50:51]                    // 000000006AAC: D3B14006 18026532
	v_pk_fma_f32 v[4:5], v[4:5], s[78:79], v[8:9]              // 000000006AB4: D3B04004 1C209D04
	v_pk_fma_f32 v[6:7], v[6:7], s[78:79], v[8:9]              // 000000006ABC: D3B04006 1C209D06
	v_pk_mul_f32 v[4:5], v[4:5], v[48:49]                      // 000000006AC4: D3B14004 18026104
	v_pk_mul_f32 v[6:7], v[6:7], v[50:51]                      // 000000006ACC: D3B14006 18026506
	v_pk_mul_f32 v[4:5], v[4:5], s[60:61]                      // 000000006AD4: D3B14004 18007904
	v_pk_mul_f32 v[6:7], v[6:7], s[60:61]                      // 000000006ADC: D3B14006 18007906
	v_exp_f32_e32 v4, v4                                       // 000000006AE4: 7E084104
	v_exp_f32_e32 v5, v5                                       // 000000006AE8: 7E0A4105
	v_exp_f32_e32 v6, v6                                       // 000000006AEC: 7E0C4106
	v_exp_f32_e32 v7, v7                                       // 000000006AF0: 7E0E4107
	v_add_f32_e64 v4, v4, 1.0                                  // 000000006AF4: D1010004 0001E504
	v_add_f32_e64 v5, v5, 1.0                                  // 000000006AFC: D1010005 0001E505
	v_add_f32_e64 v6, v6, 1.0                                  // 000000006B04: D1010006 0001E506
	v_add_f32_e64 v7, v7, 1.0                                  // 000000006B0C: D1010007 0001E507
	v_rcp_f32_e32 v4, v4                                       // 000000006B14: 7E084504
	v_rcp_f32_e32 v5, v5                                       // 000000006B18: 7E0A4505
	v_rcp_f32_e32 v6, v6                                       // 000000006B1C: 7E0C4506
	v_rcp_f32_e32 v7, v7                                       // 000000006B20: 7E0E4507
	v_mul_f32_e32 v48, v48, v4                                 // 000000006B24: 0A600930
	v_mul_f32_e32 v49, v49, v5                                 // 000000006B28: 0A620B31
	v_mul_f32_e32 v50, v50, v6                                 // 000000006B2C: 0A640D32
	v_mul_f32_e32 v51, v51, v7                                 // 000000006B30: 0A660F33
	v_mul_f32_e32 v48, v48, v64                                // 000000006B34: 0A608130
	v_mul_f32_e32 v49, v49, v65                                // 000000006B38: 0A628331
	v_mul_f32_e32 v50, v50, v66                                // 000000006B3C: 0A648532
	v_mul_f32_e32 v51, v51, v67                                // 000000006B40: 0A668733
	v_pk_mul_f32 v[4:5], v[52:53], v[52:53]                    // 000000006B44: D3B14004 18026934
	v_pk_mul_f32 v[6:7], v[54:55], v[54:55]                    // 000000006B4C: D3B14006 18026D36
	v_pk_fma_f32 v[4:5], v[4:5], s[78:79], v[8:9]              // 000000006B54: D3B04004 1C209D04
	v_pk_fma_f32 v[6:7], v[6:7], s[78:79], v[8:9]              // 000000006B5C: D3B04006 1C209D06
	v_pk_mul_f32 v[4:5], v[4:5], v[52:53]                      // 000000006B64: D3B14004 18026904
	v_pk_mul_f32 v[6:7], v[6:7], v[54:55]                      // 000000006B6C: D3B14006 18026D06
	v_pk_mul_f32 v[4:5], v[4:5], s[60:61]                      // 000000006B74: D3B14004 18007904
	v_pk_mul_f32 v[6:7], v[6:7], s[60:61]                      // 000000006B7C: D3B14006 18007906
	v_exp_f32_e32 v4, v4                                       // 000000006B84: 7E084104
	v_exp_f32_e32 v5, v5                                       // 000000006B88: 7E0A4105
	v_exp_f32_e32 v6, v6                                       // 000000006B8C: 7E0C4106
	v_exp_f32_e32 v7, v7                                       // 000000006B90: 7E0E4107
	v_add_f32_e64 v4, v4, 1.0                                  // 000000006B94: D1010004 0001E504
	v_add_f32_e64 v5, v5, 1.0                                  // 000000006B9C: D1010005 0001E505
	v_add_f32_e64 v6, v6, 1.0                                  // 000000006BA4: D1010006 0001E506
	v_add_f32_e64 v7, v7, 1.0                                  // 000000006BAC: D1010007 0001E507
	v_rcp_f32_e32 v4, v4                                       // 000000006BB4: 7E084504
	v_rcp_f32_e32 v5, v5                                       // 000000006BB8: 7E0A4505
	v_rcp_f32_e32 v6, v6                                       // 000000006BBC: 7E0C4506
	v_rcp_f32_e32 v7, v7                                       // 000000006BC0: 7E0E4507
	v_mul_f32_e32 v52, v52, v4                                 // 000000006BC4: 0A680934
	v_mul_f32_e32 v53, v53, v5                                 // 000000006BC8: 0A6A0B35
	v_mul_f32_e32 v54, v54, v6                                 // 000000006BCC: 0A6C0D36
	v_mul_f32_e32 v55, v55, v7                                 // 000000006BD0: 0A6E0F37
	v_mul_f32_e32 v52, v52, v68                                // 000000006BD4: 0A688934
	v_mul_f32_e32 v53, v53, v69                                // 000000006BD8: 0A6A8B35
	v_mul_f32_e32 v54, v54, v70                                // 000000006BDC: 0A6C8D36
	v_mul_f32_e32 v55, v55, v71                                // 000000006BE0: 0A6E8F37
	s_branch label_10FD                                        // 000000006BE4: BF820080

0000000000006be8 <label_107D>:
	v_mul_f32_e64 v4, -v40, s6                                 // 000000006BE8: D1050004 20000D28
	v_mul_f32_e64 v5, -v41, s6                                 // 000000006BF0: D1050005 20000D29
	v_mul_f32_e64 v6, -v42, s6                                 // 000000006BF8: D1050006 20000D2A
	v_mul_f32_e64 v7, -v43, s6                                 // 000000006C00: D1050007 20000D2B
	v_exp_f32_e32 v4, v4                                       // 000000006C08: 7E084104
	v_exp_f32_e32 v5, v5                                       // 000000006C0C: 7E0A4105
	v_exp_f32_e32 v6, v6                                       // 000000006C10: 7E0C4106
	v_exp_f32_e32 v7, v7                                       // 000000006C14: 7E0E4107
	v_add_f32_e64 v4, v4, 1.0                                  // 000000006C18: D1010004 0001E504
	v_add_f32_e64 v5, v5, 1.0                                  // 000000006C20: D1010005 0001E505
	v_add_f32_e64 v6, v6, 1.0                                  // 000000006C28: D1010006 0001E506
	v_add_f32_e64 v7, v7, 1.0                                  // 000000006C30: D1010007 0001E507
	v_rcp_f32_e32 v4, v4                                       // 000000006C38: 7E084504
	v_rcp_f32_e32 v5, v5                                       // 000000006C3C: 7E0A4505
	v_rcp_f32_e32 v6, v6                                       // 000000006C40: 7E0C4506
	v_rcp_f32_e32 v7, v7                                       // 000000006C44: 7E0E4507
	v_mul_f32_e32 v40, v40, v4                                 // 000000006C48: 0A500928
	v_mul_f32_e32 v41, v41, v5                                 // 000000006C4C: 0A520B29
	v_mul_f32_e32 v42, v42, v6                                 // 000000006C50: 0A540D2A
	v_mul_f32_e32 v43, v43, v7                                 // 000000006C54: 0A560F2B
	v_mul_f32_e32 v40, v40, v56                                // 000000006C58: 0A507128
	v_mul_f32_e32 v41, v41, v57                                // 000000006C5C: 0A527329
	v_mul_f32_e32 v42, v42, v58                                // 000000006C60: 0A54752A
	v_mul_f32_e32 v43, v43, v59                                // 000000006C64: 0A56772B
	v_mul_f32_e64 v4, -v44, s6                                 // 000000006C68: D1050004 20000D2C
	v_mul_f32_e64 v5, -v45, s6                                 // 000000006C70: D1050005 20000D2D
	v_mul_f32_e64 v6, -v46, s6                                 // 000000006C78: D1050006 20000D2E
	v_mul_f32_e64 v7, -v47, s6                                 // 000000006C80: D1050007 20000D2F
	v_exp_f32_e32 v4, v4                                       // 000000006C88: 7E084104
	v_exp_f32_e32 v5, v5                                       // 000000006C8C: 7E0A4105
	v_exp_f32_e32 v6, v6                                       // 000000006C90: 7E0C4106
	v_exp_f32_e32 v7, v7                                       // 000000006C94: 7E0E4107
	v_add_f32_e64 v4, v4, 1.0                                  // 000000006C98: D1010004 0001E504
	v_add_f32_e64 v5, v5, 1.0                                  // 000000006CA0: D1010005 0001E505
	v_add_f32_e64 v6, v6, 1.0                                  // 000000006CA8: D1010006 0001E506
	v_add_f32_e64 v7, v7, 1.0                                  // 000000006CB0: D1010007 0001E507
	v_rcp_f32_e32 v4, v4                                       // 000000006CB8: 7E084504
	v_rcp_f32_e32 v5, v5                                       // 000000006CBC: 7E0A4505
	v_rcp_f32_e32 v6, v6                                       // 000000006CC0: 7E0C4506
	v_rcp_f32_e32 v7, v7                                       // 000000006CC4: 7E0E4507
	v_mul_f32_e32 v44, v44, v4                                 // 000000006CC8: 0A58092C
	v_mul_f32_e32 v45, v45, v5                                 // 000000006CCC: 0A5A0B2D
	v_mul_f32_e32 v46, v46, v6                                 // 000000006CD0: 0A5C0D2E
	v_mul_f32_e32 v47, v47, v7                                 // 000000006CD4: 0A5E0F2F
	v_mul_f32_e32 v44, v44, v60                                // 000000006CD8: 0A58792C
	v_mul_f32_e32 v45, v45, v61                                // 000000006CDC: 0A5A7B2D
	v_mul_f32_e32 v46, v46, v62                                // 000000006CE0: 0A5C7D2E
	v_mul_f32_e32 v47, v47, v63                                // 000000006CE4: 0A5E7F2F
	v_mul_f32_e64 v4, -v48, s6                                 // 000000006CE8: D1050004 20000D30
	v_mul_f32_e64 v5, -v49, s6                                 // 000000006CF0: D1050005 20000D31
	v_mul_f32_e64 v6, -v50, s6                                 // 000000006CF8: D1050006 20000D32
	v_mul_f32_e64 v7, -v51, s6                                 // 000000006D00: D1050007 20000D33
	v_exp_f32_e32 v4, v4                                       // 000000006D08: 7E084104
	v_exp_f32_e32 v5, v5                                       // 000000006D0C: 7E0A4105
	v_exp_f32_e32 v6, v6                                       // 000000006D10: 7E0C4106
	v_exp_f32_e32 v7, v7                                       // 000000006D14: 7E0E4107
	v_add_f32_e64 v4, v4, 1.0                                  // 000000006D18: D1010004 0001E504
	v_add_f32_e64 v5, v5, 1.0                                  // 000000006D20: D1010005 0001E505
	v_add_f32_e64 v6, v6, 1.0                                  // 000000006D28: D1010006 0001E506
	v_add_f32_e64 v7, v7, 1.0                                  // 000000006D30: D1010007 0001E507
	v_rcp_f32_e32 v4, v4                                       // 000000006D38: 7E084504
	v_rcp_f32_e32 v5, v5                                       // 000000006D3C: 7E0A4505
	v_rcp_f32_e32 v6, v6                                       // 000000006D40: 7E0C4506
	v_rcp_f32_e32 v7, v7                                       // 000000006D44: 7E0E4507
	v_mul_f32_e32 v48, v48, v4                                 // 000000006D48: 0A600930
	v_mul_f32_e32 v49, v49, v5                                 // 000000006D4C: 0A620B31
	v_mul_f32_e32 v50, v50, v6                                 // 000000006D50: 0A640D32
	v_mul_f32_e32 v51, v51, v7                                 // 000000006D54: 0A660F33
	v_mul_f32_e32 v48, v48, v64                                // 000000006D58: 0A608130
	v_mul_f32_e32 v49, v49, v65                                // 000000006D5C: 0A628331
	v_mul_f32_e32 v50, v50, v66                                // 000000006D60: 0A648532
	v_mul_f32_e32 v51, v51, v67                                // 000000006D64: 0A668733
	v_mul_f32_e64 v4, -v52, s6                                 // 000000006D68: D1050004 20000D34
	v_mul_f32_e64 v5, -v53, s6                                 // 000000006D70: D1050005 20000D35
	v_mul_f32_e64 v6, -v54, s6                                 // 000000006D78: D1050006 20000D36
	v_mul_f32_e64 v7, -v55, s6                                 // 000000006D80: D1050007 20000D37
	v_exp_f32_e32 v4, v4                                       // 000000006D88: 7E084104
	v_exp_f32_e32 v5, v5                                       // 000000006D8C: 7E0A4105
	v_exp_f32_e32 v6, v6                                       // 000000006D90: 7E0C4106
	v_exp_f32_e32 v7, v7                                       // 000000006D94: 7E0E4107
	v_add_f32_e64 v4, v4, 1.0                                  // 000000006D98: D1010004 0001E504
	v_add_f32_e64 v5, v5, 1.0                                  // 000000006DA0: D1010005 0001E505
	v_add_f32_e64 v6, v6, 1.0                                  // 000000006DA8: D1010006 0001E506
	v_add_f32_e64 v7, v7, 1.0                                  // 000000006DB0: D1010007 0001E507
	v_rcp_f32_e32 v4, v4                                       // 000000006DB8: 7E084504
	v_rcp_f32_e32 v5, v5                                       // 000000006DBC: 7E0A4505
	v_rcp_f32_e32 v6, v6                                       // 000000006DC0: 7E0C4506
	v_rcp_f32_e32 v7, v7                                       // 000000006DC4: 7E0E4507
	v_mul_f32_e32 v52, v52, v4                                 // 000000006DC8: 0A680934
	v_mul_f32_e32 v53, v53, v5                                 // 000000006DCC: 0A6A0B35
	v_mul_f32_e32 v54, v54, v6                                 // 000000006DD0: 0A6C0D36
	v_mul_f32_e32 v55, v55, v7                                 // 000000006DD4: 0A6E0F37
	v_mul_f32_e32 v52, v52, v68                                // 000000006DD8: 0A688934
	v_mul_f32_e32 v53, v53, v69                                // 000000006DDC: 0A6A8B35
	v_mul_f32_e32 v54, v54, v70                                // 000000006DE0: 0A6C8D36
	v_mul_f32_e32 v55, v55, v71                                // 000000006DE4: 0A6E8F37

0000000000006de8 <label_10FD>:
	s_cmp_eq_u32 s7, 0                                         // 000000006DE8: BF068007
	s_cbranch_scc0 label_1104                                  // 000000006DEC: BF840005
	v_and_b32_e32 v4, 15, v0                                   // 000000006DF0: 2608008F
	v_lshlrev_b32_e32 v4, 2, v4                                // 000000006DF4: 24080882
	buffer_load_dword v30, v4, s[12:15], 0 offen               // 000000006DF8: E0501000 80031E04
	v_add_u32_e32 v4, 64, v4                                   // 000000006E00: 680808C0

0000000000006e04 <label_1104>:
	v_lshlrev_b32_e32 v4, 2, v0                                // 000000006E04: 24080082
	s_mul_i32 s60, 0x100, s7                                   // 000000006E08: 923C07FF 00000100
	v_add_u32_e32 v58, s60, v4                                 // 000000006E10: 6874083C
	v_and_b32_e32 v4, 15, v0                                   // 000000006E14: 2608008F
	v_lshlrev_b32_e32 v59, 2, v4                               // 000000006E18: 24760882
	s_waitcnt lgkmcnt(0)                                       // 000000006E1C: BF8CC07F
	s_barrier                                                  // 000000006E20: BF8A0000
	v_mov_b32_e32 v56, 0x358637bd                              // 000000006E24: 7E7002FF 358637BD
	v_max3_f32 v56, |v40|, |v41|, v56                          // 000000006E2C: D1D30338 04E25328
	v_max3_f32 v56, |v42|, |v43|, v56                          // 000000006E34: D1D30338 04E2572A
	v_max3_f32 v56, |v44|, |v45|, v56                          // 000000006E3C: D1D30338 04E25B2C
	v_max3_f32 v56, |v46|, |v47|, v56                          // 000000006E44: D1D30338 04E25F2E
	ds_write_b32 v58, v56                                      // 000000006E4C: D81A0000 0000383A
	s_waitcnt lgkmcnt(0)                                       // 000000006E54: BF8CC07F
	s_barrier                                                  // 000000006E58: BF8A0000
	ds_read_b32 v4, v59                                        // 000000006E5C: D86C0000 0400003B
	ds_read_b32 v5, v59 offset:64                              // 000000006E64: D86C0040 0500003B
	ds_read_b32 v6, v59 offset:128                             // 000000006E6C: D86C0080 0600003B
	ds_read_b32 v7, v59 offset:192                             // 000000006E74: D86C00C0 0700003B
	ds_read_b32 v8, v59 offset:256                             // 000000006E7C: D86C0100 0800003B
	ds_read_b32 v9, v59 offset:320                             // 000000006E84: D86C0140 0900003B
	ds_read_b32 v10, v59 offset:384                            // 000000006E8C: D86C0180 0A00003B
	ds_read_b32 v11, v59 offset:448                            // 000000006E94: D86C01C0 0B00003B
	ds_read_b32 v12, v59 offset:512                            // 000000006E9C: D86C0200 0C00003B
	ds_read_b32 v13, v59 offset:576                            // 000000006EA4: D86C0240 0D00003B
	ds_read_b32 v14, v59 offset:640                            // 000000006EAC: D86C0280 0E00003B
	ds_read_b32 v15, v59 offset:704                            // 000000006EB4: D86C02C0 0F00003B
	ds_read_b32 v16, v59 offset:768                            // 000000006EBC: D86C0300 1000003B
	ds_read_b32 v17, v59 offset:832                            // 000000006EC4: D86C0340 1100003B
	ds_read_b32 v18, v59 offset:896                            // 000000006ECC: D86C0380 1200003B
	ds_read_b32 v19, v59 offset:960                            // 000000006ED4: D86C03C0 1300003B
	s_waitcnt lgkmcnt(0)                                       // 000000006EDC: BF8CC07F
	s_barrier                                                  // 000000006EE0: BF8A0000
	v_max3_f32 v56, |v4|, |v5|, v56                            // 000000006EE4: D1D30338 04E20B04
	v_max3_f32 v56, |v6|, |v7|, v56                            // 000000006EEC: D1D30338 04E20F06
	v_max3_f32 v56, |v8|, |v9|, v56                            // 000000006EF4: D1D30338 04E21308
	v_max3_f32 v56, |v10|, |v11|, v56                          // 000000006EFC: D1D30338 04E2170A
	v_max3_f32 v56, |v12|, |v13|, v56                          // 000000006F04: D1D30338 04E21B0C
	v_max3_f32 v56, |v14|, |v15|, v56                          // 000000006F0C: D1D30338 04E21F0E
	v_max3_f32 v56, |v16|, |v17|, v56                          // 000000006F14: D1D30338 04E22310
	v_max3_f32 v56, |v18|, |v19|, v56                          // 000000006F1C: D1D30338 04E22712
	v_rcp_f32_e32 v56, v56                                     // 000000006F24: 7E704538
	v_mov_b32_e32 v4, 0x43700000                               // 000000006F28: 7E0802FF 43700000
	v_mul_f32_e32 v56, v4, v56                                 // 000000006F30: 0A707104
	v_mov_b32_e32 v4, v56                                      // 000000006F34: 7E080338
	v_mov_b32_e32 v5, v4                                       // 000000006F38: 7E0A0304
	v_pk_mul_f32 v[40:41], v[4:5], v[40:41]                    // 000000006F3C: D3B14028 18025104
	v_pk_mul_f32 v[42:43], v[4:5], v[42:43]                    // 000000006F44: D3B1402A 18025504
	v_cvt_pk_fp8_f32 v40, v40, v41                             // 000000006F4C: D2A20028 00025328
	v_cvt_pk_fp8_f32 v40, v42, v43 op_sel:[0,0,1]              // 000000006F54: D2A24028 0002572A
	v_pk_mul_f32 v[44:45], v[4:5], v[44:45]                    // 000000006F5C: D3B1402C 18025904
	v_pk_mul_f32 v[46:47], v[4:5], v[46:47]                    // 000000006F64: D3B1402E 18025D04
	v_cvt_pk_fp8_f32 v44, v44, v45                             // 000000006F6C: D2A2002C 00025B2C
	v_cvt_pk_fp8_f32 v44, v46, v47 op_sel:[0,0,1]              // 000000006F74: D2A2402C 00025F2E
	v_rcp_f32_e32 v56, v56                                     // 000000006F7C: 7E704538
	v_mov_b32_e32 v57, 0x358637bd                              // 000000006F80: 7E7202FF 358637BD
	v_max3_f32 v57, |v48|, |v49|, v57                          // 000000006F88: D1D30339 04E66330
	v_max3_f32 v57, |v50|, |v51|, v57                          // 000000006F90: D1D30339 04E66732
	v_max3_f32 v57, |v52|, |v53|, v57                          // 000000006F98: D1D30339 04E66B34
	v_max3_f32 v57, |v54|, |v55|, v57                          // 000000006FA0: D1D30339 04E66F36
	ds_write_b32 v58, v57                                      // 000000006FA8: D81A0000 0000393A
	s_waitcnt lgkmcnt(0)                                       // 000000006FB0: BF8CC07F
	s_barrier                                                  // 000000006FB4: BF8A0000
	ds_read_b32 v4, v59                                        // 000000006FB8: D86C0000 0400003B
	ds_read_b32 v5, v59 offset:64                              // 000000006FC0: D86C0040 0500003B
	ds_read_b32 v6, v59 offset:128                             // 000000006FC8: D86C0080 0600003B
	ds_read_b32 v7, v59 offset:192                             // 000000006FD0: D86C00C0 0700003B
	ds_read_b32 v8, v59 offset:256                             // 000000006FD8: D86C0100 0800003B
	ds_read_b32 v9, v59 offset:320                             // 000000006FE0: D86C0140 0900003B
	ds_read_b32 v10, v59 offset:384                            // 000000006FE8: D86C0180 0A00003B
	ds_read_b32 v11, v59 offset:448                            // 000000006FF0: D86C01C0 0B00003B
	ds_read_b32 v12, v59 offset:512                            // 000000006FF8: D86C0200 0C00003B
	ds_read_b32 v13, v59 offset:576                            // 000000007000: D86C0240 0D00003B
	ds_read_b32 v14, v59 offset:640                            // 000000007008: D86C0280 0E00003B
	ds_read_b32 v15, v59 offset:704                            // 000000007010: D86C02C0 0F00003B
	ds_read_b32 v16, v59 offset:768                            // 000000007018: D86C0300 1000003B
	ds_read_b32 v17, v59 offset:832                            // 000000007020: D86C0340 1100003B
	ds_read_b32 v18, v59 offset:896                            // 000000007028: D86C0380 1200003B
	ds_read_b32 v19, v59 offset:960                            // 000000007030: D86C03C0 1300003B
	s_waitcnt lgkmcnt(0)                                       // 000000007038: BF8CC07F
	s_barrier                                                  // 00000000703C: BF8A0000
	v_max3_f32 v57, |v4|, |v5|, v57                            // 000000007040: D1D30339 04E60B04
	v_max3_f32 v57, |v6|, |v7|, v57                            // 000000007048: D1D30339 04E60F06
	v_max3_f32 v57, |v8|, |v9|, v57                            // 000000007050: D1D30339 04E61308
	v_max3_f32 v57, |v10|, |v11|, v57                          // 000000007058: D1D30339 04E6170A
	v_max3_f32 v57, |v12|, |v13|, v57                          // 000000007060: D1D30339 04E61B0C
	v_max3_f32 v57, |v14|, |v15|, v57                          // 000000007068: D1D30339 04E61F0E
	v_max3_f32 v57, |v16|, |v17|, v57                          // 000000007070: D1D30339 04E62310
	v_max3_f32 v57, |v18|, |v19|, v57                          // 000000007078: D1D30339 04E62712
	v_rcp_f32_e32 v57, v57                                     // 000000007080: 7E724539
	v_mov_b32_e32 v4, 0x43700000                               // 000000007084: 7E0802FF 43700000
	v_mul_f32_e32 v57, v4, v57                                 // 00000000708C: 0A727304
	v_mov_b32_e32 v4, v57                                      // 000000007090: 7E080339
	v_mov_b32_e32 v5, v4                                       // 000000007094: 7E0A0304
	v_pk_mul_f32 v[48:49], v[4:5], v[48:49]                    // 000000007098: D3B14030 18026104
	v_pk_mul_f32 v[50:51], v[4:5], v[50:51]                    // 0000000070A0: D3B14032 18026504
	v_cvt_pk_fp8_f32 v48, v48, v49                             // 0000000070A8: D2A20030 00026330
	v_cvt_pk_fp8_f32 v48, v50, v51 op_sel:[0,0,1]              // 0000000070B0: D2A24030 00026732
	v_pk_mul_f32 v[52:53], v[4:5], v[52:53]                    // 0000000070B8: D3B14034 18026904
	v_pk_mul_f32 v[54:55], v[4:5], v[54:55]                    // 0000000070C0: D3B14036 18026D04
	v_cvt_pk_fp8_f32 v52, v52, v53                             // 0000000070C8: D2A20034 00026B34
	v_cvt_pk_fp8_f32 v52, v54, v55 op_sel:[0,0,1]              // 0000000070D0: D2A24034 00026F36
	v_rcp_f32_e32 v57, v57                                     // 0000000070D8: 7E724539
	v_lshrrev_b32_e32 v4, 5, v0                                // 0000000070DC: 20080085
	v_mul_lo_u32 v20, 34, v4                                   // 0000000070E0: D2850014 000208A2
	v_and_b32_e32 v4, 31, v0                                   // 0000000070E8: 2608009F
	v_lshrrev_b32_e32 v5, 4, v4                                // 0000000070EC: 200A0884
	v_add_u32_e32 v20, v5, v20                                 // 0000000070F0: 68282905
	v_and_b32_e32 v4, 15, v0                                   // 0000000070F4: 2608008F
	v_mul_lo_u32 v5, 2, v4                                     // 0000000070F8: D2850005 00020882
	v_add_u32_e32 v20, v5, v20                                 // 000000007100: 68282905
	s_mul_i32 s60, s7, 0x44                                    // 000000007104: 923CFF07 00000044
	v_add_u32_e32 v20, s60, v20                                // 00000000710C: 6828283C
	v_lshlrev_b32_e32 v20, 2, v20                              // 000000007110: 24282882
	ds_write_b32 v20, v40                                      // 000000007114: D81A0000 00002814
	ds_write_b32 v20, v44 offset:1088                          // 00000000711C: D81A0440 00002C14
	ds_write_b32 v20, v48 offset:2176                          // 000000007124: D81A0880 00003014
	ds_write_b32 v20, v52 offset:3264                          // 00000000712C: D81A0CC0 00003414
	v_lshrrev_b32_e32 v4, 5, v0                                // 000000007134: 20080085
	v_xor_b32_e32 v5, 1, v4                                    // 000000007138: 2A0A0881
	s_mul_i32 s60, s65, 1                                      // 00000000713C: 923C8141
	s_cmp_eq_u32 s88, 0                                        // 000000007140: BF068058
	s_cselect_b32 s61, 1, 8                                    // 000000007144: 853D8881
	s_mul_i32 s60, s61, s60                                    // 000000007148: 923C3C3D
	v_readlane_b32 s82, v3, 0                                  // 00000000714C: D2890052 00010103
	s_lshr_b32 s61, s82, 24                                    // 000000007154: 8F3D9852
	s_and_b32 s82, s82, 0xffffff                               // 000000007158: 8652FF52 00FFFFFF
	s_mul_i32 s82, s82, s71                                    // 000000007160: 92524752
	s_mul_i32 s61, s60, s61                                    // 000000007164: 923D3D3C
	s_add_u32 s82, s82, s61                                    // 000000007168: 80523D52
	v_mul_lo_u32 v6, v5, s82                                   // 00000000716C: D2850006 0000A505
	v_readlane_b32 s82, v3, 1                                  // 000000007174: D2890052 00010303
	s_lshr_b32 s61, s82, 24                                    // 00000000717C: 8F3D9852
	s_and_b32 s82, s82, 0xffffff                               // 000000007180: 8652FF52 00FFFFFF
	s_mul_i32 s82, s82, s71                                    // 000000007188: 92524752
	s_mul_i32 s61, s60, s61                                    // 00000000718C: 923D3D3C
	s_add_u32 s82, s82, s61                                    // 000000007190: 80523D52
	v_mul_lo_u32 v7, v4, s82                                   // 000000007194: D2850007 0000A504
	v_add_u32_e32 v34, v6, v7                                  // 00000000719C: 68440F06
	v_readlane_b32 s82, v3, 2                                  // 0000000071A0: D2890052 00010503
	s_lshr_b32 s61, s82, 24                                    // 0000000071A8: 8F3D9852
	s_and_b32 s82, s82, 0xffffff                               // 0000000071AC: 8652FF52 00FFFFFF
	s_mul_i32 s82, s82, s71                                    // 0000000071B4: 92524752
	s_mul_i32 s61, s60, s61                                    // 0000000071B8: 923D3D3C
	s_add_u32 s82, s82, s61                                    // 0000000071BC: 80523D52
	v_mul_lo_u32 v6, v5, s82                                   // 0000000071C0: D2850006 0000A505
	v_readlane_b32 s82, v3, 3                                  // 0000000071C8: D2890052 00010703
	s_lshr_b32 s61, s82, 24                                    // 0000000071D0: 8F3D9852
	s_and_b32 s82, s82, 0xffffff                               // 0000000071D4: 8652FF52 00FFFFFF
	s_mul_i32 s82, s82, s71                                    // 0000000071DC: 92524752
	s_mul_i32 s61, s60, s61                                    // 0000000071E0: 923D3D3C
	s_add_u32 s82, s82, s61                                    // 0000000071E4: 80523D52
	v_mul_lo_u32 v7, v4, s82                                   // 0000000071E8: D2850007 0000A504
	v_add_u32_e32 v35, v6, v7                                  // 0000000071F0: 68460F06
	v_and_b32_e32 v4, 31, v0                                   // 0000000071F4: 2608009F
	v_lshrrev_b32_e32 v4, 1, v4                                // 0000000071F8: 20080881
	s_cmp_eq_u32 s88, 0                                        // 0000000071FC: BF068058
	s_cselect_b32 s61, 2, 4                                    // 000000007200: 853D8482
	v_mul_lo_u32 v4, v4, s61                                   // 000000007204: D2850004 00007B04
	v_and_b32_e64 v5, v0, 1                                    // 00000000720C: D1130005 00010300
	v_add_u32_e32 v4, v4, v5                                   // 000000007214: 68080B04
	v_lshlrev_b32_e32 v4, 2, v4                                // 000000007218: 24080882
	v_add_u32_e32 v34, v34, v4                                 // 00000000721C: 68440922
	v_add_u32_e32 v35, v35, v4                                 // 000000007220: 68460923
	s_waitcnt lgkmcnt(0)                                       // 000000007224: BF8CC07F
	s_barrier                                                  // 000000007228: BF8A0000
	ds_read_b32 v40, v21                                       // 00000000722C: D86C0000 28000015
	ds_read_b32 v41, v21 offset:64                             // 000000007234: D86C0040 29000015
	ds_read_b32 v42, v21 offset:2176                           // 00000000723C: D86C0880 2A000015
	ds_read_b32 v43, v21 offset:2240                           // 000000007244: D86C08C0 2B000015
	s_waitcnt lgkmcnt(0)                                       // 00000000724C: BF8CC07F
	s_mov_b32 s36, -1                                          // 000000007250: BEA400C1
	s_mov_b32 s37, -1                                          // 000000007254: BEA500C1
	v_mov_b32_e32 v7, 0                                        // 000000007258: 7E0E0280
	s_or_b32 s9, s9, 0x40000                                   // 00000000725C: 8709FF09 00040000
	s_mov_b64 exec, s[36:37]                                   // 000000007264: BEFE0124
	v_mov_b32_e32 v6, v34                                      // 000000007268: 7E0C0322
	s_mov_b64 s[60:61], 0                                      // 00000000726C: BEBC0180
	v_readlane_b32 s82, v3, 0                                  // 000000007270: D2890052 00010103
	s_and_b32 s82, s82, 0xffffff                               // 000000007278: 8652FF52 00FFFFFF
	s_cmp_lt_u32 s82, s66                                      // 000000007280: BF0A4252
	s_cselect_b32 s20, s36, s60                                // 000000007284: 85143C24
	v_readlane_b32 s82, v3, 1                                  // 000000007288: D2890052 00010303
	s_and_b32 s82, s82, 0xffffff                               // 000000007290: 8652FF52 00FFFFFF
	s_cmp_lt_u32 s82, s66                                      // 000000007298: BF0A4252
	s_cselect_b32 s21, s36, s60                                // 00000000729C: 85153C24
	s_mov_b64 exec, s[20:21]                                   // 0000000072A0: BEFE0114
	buffer_store_dword v40, v6, s[8:11], 0 offen               // 0000000072A4: E0701000 80022806
	buffer_store_dword v42, v6, s[8:11], 0 offen offset:128    // 0000000072AC: E0701080 80022A06
	s_mov_b64 exec, s[36:37]                                   // 0000000072B4: BEFE0124
	v_mov_b32_e32 v6, v35                                      // 0000000072B8: 7E0C0323
	s_mov_b64 s[60:61], 0                                      // 0000000072BC: BEBC0180
	v_readlane_b32 s82, v3, 2                                  // 0000000072C0: D2890052 00010503
	s_and_b32 s82, s82, 0xffffff                               // 0000000072C8: 8652FF52 00FFFFFF
	s_cmp_lt_u32 s82, s66                                      // 0000000072D0: BF0A4252
	s_cselect_b32 s20, s36, s60                                // 0000000072D4: 85143C24
	v_readlane_b32 s82, v3, 3                                  // 0000000072D8: D2890052 00010703
	s_and_b32 s82, s82, 0xffffff                               // 0000000072E0: 8652FF52 00FFFFFF
	s_cmp_lt_u32 s82, s66                                      // 0000000072E8: BF0A4252
	s_cselect_b32 s21, s36, s60                                // 0000000072EC: 85153C24
	s_mov_b64 exec, s[20:21]                                   // 0000000072F0: BEFE0114
	buffer_store_dword v41, v6, s[8:11], 0 offen               // 0000000072F4: E0701000 80022906
	buffer_store_dword v43, v6, s[8:11], 0 offen offset:128    // 0000000072FC: E0701080 80022B06
	s_mov_b64 exec, s[36:37]                                   // 000000007304: BEFE0124
	s_cmp_eq_u32 s7, 0                                         // 000000007308: BF068007
	s_cbranch_scc0 label_13D9                                  // 00000000730C: BF840192
	s_waitcnt vmcnt(4)                                         // 000000007310: BF8C0F74
	s_mov_b32 s8, s90                                          // 000000007314: BE88005A
	s_mov_b32 s9, s91                                          // 000000007318: BE89005B
	s_mul_i32 s60, s66, s71                                    // 00000000731C: 923C4742
	s_add_u32 s8, s60, s8                                      // 000000007320: 8008083C
	s_addc_u32 s9, 0, s9                                       // 000000007324: 82090980
	s_lshr_b32 s71, s71, 5                                     // 000000007328: 8F478547
	s_mul_i32 s60, s66, s71                                    // 00000000732C: 923C4742
	s_mov_b32 s10, s60                                         // 000000007330: BE8A003C
	s_lshr_b32 s61, s65, 5                                     // 000000007334: 8F3D8541
	s_mul_i32 s60, s2, 8                                       // 000000007338: 923C8802
	v_lshrrev_b32_e32 v4, 24, v30                              // 00000000733C: 20083C98
	v_mul_lo_u32 v4, s61, v4                                   // 000000007340: D2850004 0002083D
	v_and_b32_e32 v30, 0xffffff, v30                           // 000000007348: 263C3CFF 00FFFFFF
	v_mul_lo_u32 v30, s71, v30                                 // 000000007350: D285001E 00023C47
	v_add_u32_e32 v30, v4, v30                                 // 000000007358: 683C3D04
	v_add_u32_e32 v30, s60, v30                                // 00000000735C: 683C3C3C
	s_mov_b64 exec, 0xffff                                     // 000000007360: BEFE01FF 0000FFFF
	buffer_store_dword v56, v30, s[8:11], 0 offen              // 000000007368: E0701000 8002381E
	buffer_store_dword v57, v30, s[8:11], 0 offen offset:4     // 000000007370: E0701004 8002391E
	s_mov_b64 exec, s[36:37]                                   // 000000007378: BEFE0124
	s_branch label_13D9                                        // 00000000737C: BF820176

0000000000007380 <label_1263>:
	ds_write_b64 v20, v[40:41]                                 // 000000007380: D89A0000 00002814
	ds_write_b64 v20, v[44:45] offset:2176                     // 000000007388: D89A0880 00002C14
	ds_write_b64 v20, v[48:49] offset:4352                     // 000000007390: D89A1100 00003014
	ds_write_b64 v20, v[52:53] offset:6528                     // 000000007398: D89A1980 00003414
	v_lshrrev_b32_e32 v4, 5, v0                                // 0000000073A0: 20080085
	v_xor_b32_e32 v5, 1, v4                                    // 0000000073A4: 2A0A0881
	s_mul_i32 s60, s65, 1                                      // 0000000073A8: 923C8141
	s_cmp_eq_u32 s88, 0                                        // 0000000073AC: BF068058
	s_cselect_b32 s61, 1, 8                                    // 0000000073B0: 853D8881
	s_mul_i32 s60, s61, s60                                    // 0000000073B4: 923C3C3D
	v_readlane_b32 s82, v3, 0                                  // 0000000073B8: D2890052 00010103
	s_lshr_b32 s61, s82, 24                                    // 0000000073C0: 8F3D9852
	s_and_b32 s82, s82, 0xffffff                               // 0000000073C4: 8652FF52 00FFFFFF
	s_mul_i32 s82, s82, s71                                    // 0000000073CC: 92524752
	s_mul_i32 s61, s60, s61                                    // 0000000073D0: 923D3D3C
	s_add_u32 s82, s82, s61                                    // 0000000073D4: 80523D52
	v_mul_lo_u32 v6, v5, s82                                   // 0000000073D8: D2850006 0000A505
	v_readlane_b32 s82, v3, 1                                  // 0000000073E0: D2890052 00010303
	s_lshr_b32 s61, s82, 24                                    // 0000000073E8: 8F3D9852
	s_and_b32 s82, s82, 0xffffff                               // 0000000073EC: 8652FF52 00FFFFFF
	s_mul_i32 s82, s82, s71                                    // 0000000073F4: 92524752
	s_mul_i32 s61, s60, s61                                    // 0000000073F8: 923D3D3C
	s_add_u32 s82, s82, s61                                    // 0000000073FC: 80523D52
	v_mul_lo_u32 v7, v4, s82                                   // 000000007400: D2850007 0000A504
	v_add_u32_e32 v34, v6, v7                                  // 000000007408: 68440F06
	v_readlane_b32 s82, v3, 2                                  // 00000000740C: D2890052 00010503
	s_lshr_b32 s61, s82, 24                                    // 000000007414: 8F3D9852
	s_and_b32 s82, s82, 0xffffff                               // 000000007418: 8652FF52 00FFFFFF
	s_mul_i32 s82, s82, s71                                    // 000000007420: 92524752
	s_mul_i32 s61, s60, s61                                    // 000000007424: 923D3D3C
	s_add_u32 s82, s82, s61                                    // 000000007428: 80523D52
	v_mul_lo_u32 v6, v5, s82                                   // 00000000742C: D2850006 0000A505
	v_readlane_b32 s82, v3, 3                                  // 000000007434: D2890052 00010703
	s_lshr_b32 s61, s82, 24                                    // 00000000743C: 8F3D9852
	s_and_b32 s82, s82, 0xffffff                               // 000000007440: 8652FF52 00FFFFFF
	s_mul_i32 s82, s82, s71                                    // 000000007448: 92524752
	s_mul_i32 s61, s60, s61                                    // 00000000744C: 923D3D3C
	s_add_u32 s82, s82, s61                                    // 000000007450: 80523D52
	v_mul_lo_u32 v7, v4, s82                                   // 000000007454: D2850007 0000A504
	v_add_u32_e32 v35, v6, v7                                  // 00000000745C: 68460F06
	v_and_b32_e32 v4, 31, v0                                   // 000000007460: 2608009F
	v_lshrrev_b32_e32 v4, 1, v4                                // 000000007464: 20080881
	s_cmp_eq_u32 s88, 0                                        // 000000007468: BF068058
	s_cselect_b32 s61, 2, 4                                    // 00000000746C: 853D8482
	v_mul_lo_u32 v4, v4, s61                                   // 000000007470: D2850004 00007B04
	v_and_b32_e64 v5, v0, 1                                    // 000000007478: D1130005 00010300
	v_add_u32_e32 v4, v4, v5                                   // 000000007480: 68080B04
	v_lshlrev_b32_e32 v4, 2, v4                                // 000000007484: 24080882
	v_add_u32_e32 v34, v34, v4                                 // 000000007488: 68440922
	v_add_u32_e32 v35, v35, v4                                 // 00000000748C: 68460923
	s_waitcnt lgkmcnt(0)                                       // 000000007490: BF8CC07F
	s_barrier                                                  // 000000007494: BF8A0000
	ds_read_b32 v40, v21                                       // 000000007498: D86C0000 28000015
	ds_read_b32 v41, v21 offset:64                             // 0000000074A0: D86C0040 29000015
	ds_read_b32 v44, v21 offset:2176                           // 0000000074A8: D86C0880 2C000015
	ds_read_b32 v45, v21 offset:2240                           // 0000000074B0: D86C08C0 2D000015
	ds_read_b32 v48, v21 offset:4352                           // 0000000074B8: D86C1100 30000015
	ds_read_b32 v49, v21 offset:4416                           // 0000000074C0: D86C1140 31000015
	ds_read_b32 v52, v21 offset:6528                           // 0000000074C8: D86C1980 34000015
	ds_read_b32 v53, v21 offset:6592                           // 0000000074D0: D86C19C0 35000015
	s_waitcnt lgkmcnt(0)                                       // 0000000074D8: BF8CC07F
	s_mov_b32 s36, -1                                          // 0000000074DC: BEA400C1
	s_mov_b32 s37, -1                                          // 0000000074E0: BEA500C1
	v_mov_b32_e32 v7, 0                                        // 0000000074E4: 7E0E0280
	s_mov_b64 exec, s[36:37]                                   // 0000000074E8: BEFE0124
	v_mov_b32_e32 v6, v34                                      // 0000000074EC: 7E0C0322
	s_mov_b64 s[60:61], 0                                      // 0000000074F0: BEBC0180
	v_readlane_b32 s82, v3, 0                                  // 0000000074F4: D2890052 00010103
	s_and_b32 s82, s82, 0xffffff                               // 0000000074FC: 8652FF52 00FFFFFF
	s_cmp_lt_u32 s82, s66                                      // 000000007504: BF0A4252
	s_cselect_b32 s20, s36, s60                                // 000000007508: 85143C24
	v_readlane_b32 s82, v3, 1                                  // 00000000750C: D2890052 00010303
	s_and_b32 s82, s82, 0xffffff                               // 000000007514: 8652FF52 00FFFFFF
	s_cmp_lt_u32 s82, s66                                      // 00000000751C: BF0A4252
	s_cselect_b32 s21, s36, s60                                // 000000007520: 85153C24
	s_mov_b64 exec, s[20:21]                                   // 000000007524: BEFE0114
	global_atomic_add_f32 v6, v40, s[8:9]                      // 000000007528: DD348000 00082806
	global_atomic_add_f32 v6, v44, s[8:9] offset:256           // 000000007530: DD348100 00082C06
	global_atomic_add_f32 v6, v48, s[8:9] offset:512           // 000000007538: DD348200 00083006
	global_atomic_add_f32 v6, v52, s[8:9] offset:768           // 000000007540: DD348300 00083406
	s_mov_b64 exec, s[36:37]                                   // 000000007548: BEFE0124
	v_mov_b32_e32 v6, v35                                      // 00000000754C: 7E0C0323
	s_mov_b64 s[60:61], 0                                      // 000000007550: BEBC0180
	v_readlane_b32 s82, v3, 2                                  // 000000007554: D2890052 00010503
	s_and_b32 s82, s82, 0xffffff                               // 00000000755C: 8652FF52 00FFFFFF
	s_cmp_lt_u32 s82, s66                                      // 000000007564: BF0A4252
	s_cselect_b32 s20, s36, s60                                // 000000007568: 85143C24
	v_readlane_b32 s82, v3, 3                                  // 00000000756C: D2890052 00010703
	s_and_b32 s82, s82, 0xffffff                               // 000000007574: 8652FF52 00FFFFFF
	s_cmp_lt_u32 s82, s66                                      // 00000000757C: BF0A4252
	s_cselect_b32 s21, s36, s60                                // 000000007580: 85153C24
	s_mov_b64 exec, s[20:21]                                   // 000000007584: BEFE0114
	global_atomic_add_f32 v6, v41, s[8:9]                      // 000000007588: DD348000 00082906
	global_atomic_add_f32 v6, v45, s[8:9] offset:256           // 000000007590: DD348100 00082D06
	global_atomic_add_f32 v6, v49, s[8:9] offset:512           // 000000007598: DD348200 00083106
	global_atomic_add_f32 v6, v53, s[8:9] offset:768           // 0000000075A0: DD348300 00083506
	s_mov_b64 exec, s[36:37]                                   // 0000000075A8: BEFE0124
	ds_write_b64 v20, v[42:43]                                 // 0000000075AC: D89A0000 00002A14
	ds_write_b64 v20, v[46:47] offset:2176                     // 0000000075B4: D89A0880 00002E14
	ds_write_b64 v20, v[50:51] offset:4352                     // 0000000075BC: D89A1100 00003214
	ds_write_b64 v20, v[54:55] offset:6528                     // 0000000075C4: D89A1980 00003614
	s_waitcnt lgkmcnt(0)                                       // 0000000075CC: BF8CC07F
	s_barrier                                                  // 0000000075D0: BF8A0000
	ds_read_b32 v42, v21                                       // 0000000075D4: D86C0000 2A000015
	ds_read_b32 v43, v21 offset:64                             // 0000000075DC: D86C0040 2B000015
	ds_read_b32 v46, v21 offset:2176                           // 0000000075E4: D86C0880 2E000015
	ds_read_b32 v47, v21 offset:2240                           // 0000000075EC: D86C08C0 2F000015
	ds_read_b32 v50, v21 offset:4352                           // 0000000075F4: D86C1100 32000015
	ds_read_b32 v51, v21 offset:4416                           // 0000000075FC: D86C1140 33000015
	ds_read_b32 v54, v21 offset:6528                           // 000000007604: D86C1980 36000015
	ds_read_b32 v55, v21 offset:6592                           // 00000000760C: D86C19C0 37000015
	s_waitcnt lgkmcnt(0)                                       // 000000007614: BF8CC07F
	v_mov_b32_e32 v7, 0                                        // 000000007618: 7E0E0280
	s_mov_b64 exec, s[36:37]                                   // 00000000761C: BEFE0124
	v_mov_b32_e32 v6, v34                                      // 000000007620: 7E0C0322
	s_mov_b64 s[60:61], 0                                      // 000000007624: BEBC0180
	v_readlane_b32 s82, v3, 0                                  // 000000007628: D2890052 00010103
	s_and_b32 s82, s82, 0xffffff                               // 000000007630: 8652FF52 00FFFFFF
	s_cmp_lt_u32 s82, s66                                      // 000000007638: BF0A4252
	s_cselect_b32 s20, s36, s60                                // 00000000763C: 85143C24
	v_readlane_b32 s82, v3, 1                                  // 000000007640: D2890052 00010303
	s_and_b32 s82, s82, 0xffffff                               // 000000007648: 8652FF52 00FFFFFF
	s_cmp_lt_u32 s82, s66                                      // 000000007650: BF0A4252
	s_cselect_b32 s21, s36, s60                                // 000000007654: 85153C24
	s_mov_b64 exec, s[20:21]                                   // 000000007658: BEFE0114
	global_atomic_add_f32 v6, v42, s[8:9] offset:8             // 00000000765C: DD348008 00082A06
	global_atomic_add_f32 v6, v46, s[8:9] offset:264           // 000000007664: DD348108 00082E06
	global_atomic_add_f32 v6, v50, s[8:9] offset:520           // 00000000766C: DD348208 00083206
	global_atomic_add_f32 v6, v54, s[8:9] offset:776           // 000000007674: DD348308 00083606
	s_mov_b64 exec, s[36:37]                                   // 00000000767C: BEFE0124
	v_mov_b32_e32 v6, v35                                      // 000000007680: 7E0C0323
	s_mov_b64 s[60:61], 0                                      // 000000007684: BEBC0180
	v_readlane_b32 s82, v3, 2                                  // 000000007688: D2890052 00010503
	s_and_b32 s82, s82, 0xffffff                               // 000000007690: 8652FF52 00FFFFFF
	s_cmp_lt_u32 s82, s66                                      // 000000007698: BF0A4252
	s_cselect_b32 s20, s36, s60                                // 00000000769C: 85143C24
	v_readlane_b32 s82, v3, 3                                  // 0000000076A0: D2890052 00010703
	s_and_b32 s82, s82, 0xffffff                               // 0000000076A8: 8652FF52 00FFFFFF
	s_cmp_lt_u32 s82, s66                                      // 0000000076B0: BF0A4252
	s_cselect_b32 s21, s36, s60                                // 0000000076B4: 85153C24
	s_mov_b64 exec, s[20:21]                                   // 0000000076B8: BEFE0114
	global_atomic_add_f32 v6, v43, s[8:9] offset:8             // 0000000076BC: DD348008 00082B06
	global_atomic_add_f32 v6, v47, s[8:9] offset:264           // 0000000076C4: DD348108 00082F06
	global_atomic_add_f32 v6, v51, s[8:9] offset:520           // 0000000076CC: DD348208 00083306
	global_atomic_add_f32 v6, v55, s[8:9] offset:776           // 0000000076D4: DD348308 00083706
	s_mov_b64 exec, s[36:37]                                   // 0000000076DC: BEFE0124
	ds_write_b64 v20, v[56:57]                                 // 0000000076E0: D89A0000 00003814
	ds_write_b64 v20, v[60:61] offset:2176                     // 0000000076E8: D89A0880 00003C14
	ds_write_b64 v20, v[64:65] offset:4352                     // 0000000076F0: D89A1100 00004014
	ds_write_b64 v20, v[68:69] offset:6528                     // 0000000076F8: D89A1980 00004414
	s_waitcnt lgkmcnt(0)                                       // 000000007700: BF8CC07F
	s_barrier                                                  // 000000007704: BF8A0000
	ds_read_b32 v56, v21                                       // 000000007708: D86C0000 38000015
	ds_read_b32 v57, v21 offset:64                             // 000000007710: D86C0040 39000015
	ds_read_b32 v60, v21 offset:2176                           // 000000007718: D86C0880 3C000015
	ds_read_b32 v61, v21 offset:2240                           // 000000007720: D86C08C0 3D000015
	ds_read_b32 v64, v21 offset:4352                           // 000000007728: D86C1100 40000015
	ds_read_b32 v65, v21 offset:4416                           // 000000007730: D86C1140 41000015
	ds_read_b32 v68, v21 offset:6528                           // 000000007738: D86C1980 44000015
	ds_read_b32 v69, v21 offset:6592                           // 000000007740: D86C19C0 45000015
	s_mul_i32 s60, s65, 4                                      // 000000007748: 923C8441
	s_add_u32 s8, s60, s8                                      // 00000000774C: 8008083C
	s_addc_u32 s9, 0, s9                                       // 000000007750: 82090980
	s_waitcnt lgkmcnt(0)                                       // 000000007754: BF8CC07F
	v_mov_b32_e32 v7, 0                                        // 000000007758: 7E0E0280
	s_mov_b64 exec, s[36:37]                                   // 00000000775C: BEFE0124
	v_mov_b32_e32 v6, v34                                      // 000000007760: 7E0C0322
	s_mov_b64 s[60:61], 0                                      // 000000007764: BEBC0180
	v_readlane_b32 s82, v3, 0                                  // 000000007768: D2890052 00010103
	s_and_b32 s82, s82, 0xffffff                               // 000000007770: 8652FF52 00FFFFFF
	s_cmp_lt_u32 s82, s66                                      // 000000007778: BF0A4252
	s_cselect_b32 s20, s36, s60                                // 00000000777C: 85143C24
	v_readlane_b32 s82, v3, 1                                  // 000000007780: D2890052 00010303
	s_and_b32 s82, s82, 0xffffff                               // 000000007788: 8652FF52 00FFFFFF
	s_cmp_lt_u32 s82, s66                                      // 000000007790: BF0A4252
	s_cselect_b32 s21, s36, s60                                // 000000007794: 85153C24
	s_mov_b64 exec, s[20:21]                                   // 000000007798: BEFE0114
	global_atomic_add_f32 v6, v56, s[8:9]                      // 00000000779C: DD348000 00083806
	global_atomic_add_f32 v6, v60, s[8:9] offset:256           // 0000000077A4: DD348100 00083C06
	global_atomic_add_f32 v6, v64, s[8:9] offset:512           // 0000000077AC: DD348200 00084006
	global_atomic_add_f32 v6, v68, s[8:9] offset:768           // 0000000077B4: DD348300 00084406
	s_mov_b64 exec, s[36:37]                                   // 0000000077BC: BEFE0124
	v_mov_b32_e32 v6, v35                                      // 0000000077C0: 7E0C0323
	s_mov_b64 s[60:61], 0                                      // 0000000077C4: BEBC0180
	v_readlane_b32 s82, v3, 2                                  // 0000000077C8: D2890052 00010503
	s_and_b32 s82, s82, 0xffffff                               // 0000000077D0: 8652FF52 00FFFFFF
	s_cmp_lt_u32 s82, s66                                      // 0000000077D8: BF0A4252
	s_cselect_b32 s20, s36, s60                                // 0000000077DC: 85143C24
	v_readlane_b32 s82, v3, 3                                  // 0000000077E0: D2890052 00010703
	s_and_b32 s82, s82, 0xffffff                               // 0000000077E8: 8652FF52 00FFFFFF
	s_cmp_lt_u32 s82, s66                                      // 0000000077F0: BF0A4252
	s_cselect_b32 s21, s36, s60                                // 0000000077F4: 85153C24
	s_mov_b64 exec, s[20:21]                                   // 0000000077F8: BEFE0114
	global_atomic_add_f32 v6, v57, s[8:9]                      // 0000000077FC: DD348000 00083906
	global_atomic_add_f32 v6, v61, s[8:9] offset:256           // 000000007804: DD348100 00083D06
	global_atomic_add_f32 v6, v65, s[8:9] offset:512           // 00000000780C: DD348200 00084106
	global_atomic_add_f32 v6, v69, s[8:9] offset:768           // 000000007814: DD348300 00084506
	s_mov_b64 exec, s[36:37]                                   // 00000000781C: BEFE0124
	ds_write_b64 v20, v[58:59]                                 // 000000007820: D89A0000 00003A14
	ds_write_b64 v20, v[62:63] offset:2176                     // 000000007828: D89A0880 00003E14
	ds_write_b64 v20, v[66:67] offset:4352                     // 000000007830: D89A1100 00004214
	ds_write_b64 v20, v[70:71] offset:6528                     // 000000007838: D89A1980 00004614
	s_waitcnt lgkmcnt(0)                                       // 000000007840: BF8CC07F
	s_barrier                                                  // 000000007844: BF8A0000
	ds_read_b32 v58, v21                                       // 000000007848: D86C0000 3A000015
	ds_read_b32 v59, v21 offset:64                             // 000000007850: D86C0040 3B000015
	ds_read_b32 v62, v21 offset:2176                           // 000000007858: D86C0880 3E000015
	ds_read_b32 v63, v21 offset:2240                           // 000000007860: D86C08C0 3F000015
	ds_read_b32 v66, v21 offset:4352                           // 000000007868: D86C1100 42000015
	ds_read_b32 v67, v21 offset:4416                           // 000000007870: D86C1140 43000015
	ds_read_b32 v70, v21 offset:6528                           // 000000007878: D86C1980 46000015
	ds_read_b32 v71, v21 offset:6592                           // 000000007880: D86C19C0 47000015
	s_waitcnt lgkmcnt(0)                                       // 000000007888: BF8CC07F
	v_mov_b32_e32 v7, 0                                        // 00000000788C: 7E0E0280
	s_mov_b64 exec, s[36:37]                                   // 000000007890: BEFE0124
	v_mov_b32_e32 v6, v34                                      // 000000007894: 7E0C0322
	s_mov_b64 s[60:61], 0                                      // 000000007898: BEBC0180
	v_readlane_b32 s82, v3, 0                                  // 00000000789C: D2890052 00010103
	s_and_b32 s82, s82, 0xffffff                               // 0000000078A4: 8652FF52 00FFFFFF
	s_cmp_lt_u32 s82, s66                                      // 0000000078AC: BF0A4252
	s_cselect_b32 s20, s36, s60                                // 0000000078B0: 85143C24
	v_readlane_b32 s82, v3, 1                                  // 0000000078B4: D2890052 00010303
	s_and_b32 s82, s82, 0xffffff                               // 0000000078BC: 8652FF52 00FFFFFF
	s_cmp_lt_u32 s82, s66                                      // 0000000078C4: BF0A4252
	s_cselect_b32 s21, s36, s60                                // 0000000078C8: 85153C24
	s_mov_b64 exec, s[20:21]                                   // 0000000078CC: BEFE0114
	global_atomic_add_f32 v6, v58, s[8:9] offset:8             // 0000000078D0: DD348008 00083A06
	global_atomic_add_f32 v6, v62, s[8:9] offset:264           // 0000000078D8: DD348108 00083E06
	global_atomic_add_f32 v6, v66, s[8:9] offset:520           // 0000000078E0: DD348208 00084206
	global_atomic_add_f32 v6, v70, s[8:9] offset:776           // 0000000078E8: DD348308 00084606
	s_mov_b64 exec, s[36:37]                                   // 0000000078F0: BEFE0124
	v_mov_b32_e32 v6, v35                                      // 0000000078F4: 7E0C0323
	s_mov_b64 s[60:61], 0                                      // 0000000078F8: BEBC0180
	v_readlane_b32 s82, v3, 2                                  // 0000000078FC: D2890052 00010503
	s_and_b32 s82, s82, 0xffffff                               // 000000007904: 8652FF52 00FFFFFF
	s_cmp_lt_u32 s82, s66                                      // 00000000790C: BF0A4252
	s_cselect_b32 s20, s36, s60                                // 000000007910: 85143C24
	v_readlane_b32 s82, v3, 3                                  // 000000007914: D2890052 00010703
	s_and_b32 s82, s82, 0xffffff                               // 00000000791C: 8652FF52 00FFFFFF
	s_cmp_lt_u32 s82, s66                                      // 000000007924: BF0A4252
	s_cselect_b32 s21, s36, s60                                // 000000007928: 85153C24
	s_mov_b64 exec, s[20:21]                                   // 00000000792C: BEFE0114
	global_atomic_add_f32 v6, v59, s[8:9] offset:8             // 000000007930: DD348008 00083B06
	global_atomic_add_f32 v6, v63, s[8:9] offset:264           // 000000007938: DD348108 00083F06
	global_atomic_add_f32 v6, v67, s[8:9] offset:520           // 000000007940: DD348208 00084306
	global_atomic_add_f32 v6, v71, s[8:9] offset:776           // 000000007948: DD348308 00084706
	s_mov_b64 exec, s[36:37]                                   // 000000007950: BEFE0124
	s_branch label_13D9                                        // 000000007954: BF820000

0000000000007958 <label_13D9>:
	s_waitcnt vmcnt(0) expcnt(0) lgkmcnt(0)                    // 000000007958: BF8C0000
	s_endpgm                                                   // 00000000795C: BF810000
